;; amdgpu-corpus repo=ROCm/rocSPARSE kind=compiled arch=gfx90a opt=O3
	.text
	.amdgcn_target "amdgcn-amd-amdhsa--gfx90a"
	.amdhsa_code_object_version 6
	.section	.text._ZN9rocsparseL19gpsv_strided_gatherILj256EfEEviiiPKT0_PS1_,"axG",@progbits,_ZN9rocsparseL19gpsv_strided_gatherILj256EfEEviiiPKT0_PS1_,comdat
	.globl	_ZN9rocsparseL19gpsv_strided_gatherILj256EfEEviiiPKT0_PS1_ ; -- Begin function _ZN9rocsparseL19gpsv_strided_gatherILj256EfEEviiiPKT0_PS1_
	.p2align	8
	.type	_ZN9rocsparseL19gpsv_strided_gatherILj256EfEEviiiPKT0_PS1_,@function
_ZN9rocsparseL19gpsv_strided_gatherILj256EfEEviiiPKT0_PS1_: ; @_ZN9rocsparseL19gpsv_strided_gatherILj256EfEEviiiPKT0_PS1_
; %bb.0:
	s_load_dword s0, s[4:5], 0x2c
	s_load_dwordx4 s[8:11], s[4:5], 0x0
	s_waitcnt lgkmcnt(0)
	s_and_b32 s0, s0, 0xffff
	s_mul_i32 s11, s6, s0
	s_cmp_gt_i32 s8, 0
	v_add_u32_e32 v2, s11, v0
	v_cmp_gt_i32_e32 vcc, s9, v2
	s_cselect_b64 s[0:1], -1, 0
	s_and_b64 s[0:1], vcc, s[0:1]
	s_and_saveexec_b64 s[2:3], s[0:1]
	s_cbranch_execz .LBB0_10
; %bb.1:
	s_load_dwordx4 s[4:7], s[4:5], 0x10
	s_cmp_lt_u32 s8, 6
	s_cselect_b64 s[2:3], -1, 0
	s_and_b64 vcc, exec, s[2:3]
	s_cbranch_vccnz .LBB0_6
; %bb.2:
	s_cmp_eq_u32 s10, 1
	s_cselect_b64 s[0:1], -1, 0
	s_cmp_eq_u32 s9, 1
	v_add3_u32 v1, s8, -1, v2
	s_cselect_b64 s[2:3], -1, 0
	v_cmp_ge_i32_e32 vcc, v1, v2
	s_and_b64 s[0:1], s[0:1], s[2:3]
	s_and_b64 s[12:13], s[0:1], vcc
	s_mov_b64 s[2:3], -1
	v_mov_b32_e32 v1, 0
	s_and_saveexec_b64 s[0:1], s[12:13]
	s_cbranch_execz .LBB0_7
; %bb.3:
	s_and_b32 s2, s8, 0x7ffffffc
	s_waitcnt lgkmcnt(0)
	v_mov_b32_e32 v1, s5
	v_mov_b32_e32 v4, s7
	s_mov_b32 s3, s2
.LBB0_4:                                ; =>This Inner Loop Header: Depth=1
	v_ashrrev_i32_e32 v3, 31, v2
	v_lshlrev_b64 v[10:11], 2, v[2:3]
	v_add_co_u32_e32 v6, vcc, s4, v10
	v_addc_co_u32_e32 v7, vcc, v1, v11, vcc
	global_load_dwordx4 v[6:9], v[6:7], off
	s_add_i32 s3, s3, -4
	v_add_co_u32_e32 v10, vcc, s6, v10
	s_cmp_lg_u32 s3, 0
	v_addc_co_u32_e32 v11, vcc, v4, v11, vcc
	v_add_u32_e32 v2, 4, v2
	s_waitcnt vmcnt(0)
	global_store_dwordx4 v[10:11], v[6:9], off
	s_cbranch_scc1 .LBB0_4
; %bb.5:
	s_cmp_lg_u32 s2, s8
	s_cselect_b64 s[12:13], -1, 0
	v_mov_b32_e32 v1, s2
	s_orn2_b64 s[2:3], s[12:13], exec
	s_or_b64 exec, exec, s[0:1]
	s_and_b64 exec, exec, s[2:3]
	s_cbranch_execnz .LBB0_8
	s_branch .LBB0_10
.LBB0_6:
	v_mov_b32_e32 v1, 0
	s_and_b64 exec, exec, s[2:3]
	s_cbranch_execnz .LBB0_8
	s_branch .LBB0_10
.LBB0_7:
	s_or_b64 exec, exec, s[0:1]
	s_and_b64 exec, exec, s[2:3]
	s_cbranch_execz .LBB0_10
.LBB0_8:
	v_sub_u32_e32 v4, s8, v1
	v_mul_lo_u32 v2, v1, s9
	v_mul_lo_u32 v1, v1, s10
	v_add3_u32 v2, v0, v2, s11
	v_add3_u32 v0, v0, v1, s11
	s_mov_b64 s[2:3], 0
	s_waitcnt lgkmcnt(0)
	v_mov_b32_e32 v5, s5
	v_mov_b32_e32 v6, s7
.LBB0_9:                                ; =>This Inner Loop Header: Depth=1
	v_ashrrev_i32_e32 v1, 31, v0
	v_lshlrev_b64 v[8:9], 2, v[0:1]
	v_add_co_u32_e32 v8, vcc, s4, v8
	v_addc_co_u32_e32 v9, vcc, v5, v9, vcc
	global_load_dword v1, v[8:9], off
	v_ashrrev_i32_e32 v3, 31, v2
	v_add_u32_e32 v4, -1, v4
	v_lshlrev_b64 v[8:9], 2, v[2:3]
	v_cmp_eq_u32_e32 vcc, 0, v4
	v_add_co_u32_e64 v8, s[0:1], s6, v8
	v_add_u32_e32 v2, s9, v2
	v_addc_co_u32_e64 v9, s[0:1], v6, v9, s[0:1]
	s_or_b64 s[2:3], vcc, s[2:3]
	v_add_u32_e32 v0, s10, v0
	s_waitcnt vmcnt(0)
	global_store_dword v[8:9], v1, off
	s_andn2_b64 exec, exec, s[2:3]
	s_cbranch_execnz .LBB0_9
.LBB0_10:
	s_endpgm
	.section	.rodata,"a",@progbits
	.p2align	6, 0x0
	.amdhsa_kernel _ZN9rocsparseL19gpsv_strided_gatherILj256EfEEviiiPKT0_PS1_
		.amdhsa_group_segment_fixed_size 0
		.amdhsa_private_segment_fixed_size 0
		.amdhsa_kernarg_size 288
		.amdhsa_user_sgpr_count 6
		.amdhsa_user_sgpr_private_segment_buffer 1
		.amdhsa_user_sgpr_dispatch_ptr 0
		.amdhsa_user_sgpr_queue_ptr 0
		.amdhsa_user_sgpr_kernarg_segment_ptr 1
		.amdhsa_user_sgpr_dispatch_id 0
		.amdhsa_user_sgpr_flat_scratch_init 0
		.amdhsa_user_sgpr_kernarg_preload_length 0
		.amdhsa_user_sgpr_kernarg_preload_offset 0
		.amdhsa_user_sgpr_private_segment_size 0
		.amdhsa_uses_dynamic_stack 0
		.amdhsa_system_sgpr_private_segment_wavefront_offset 0
		.amdhsa_system_sgpr_workgroup_id_x 1
		.amdhsa_system_sgpr_workgroup_id_y 0
		.amdhsa_system_sgpr_workgroup_id_z 0
		.amdhsa_system_sgpr_workgroup_info 0
		.amdhsa_system_vgpr_workitem_id 0
		.amdhsa_next_free_vgpr 12
		.amdhsa_next_free_sgpr 14
		.amdhsa_accum_offset 12
		.amdhsa_reserve_vcc 1
		.amdhsa_reserve_flat_scratch 0
		.amdhsa_float_round_mode_32 0
		.amdhsa_float_round_mode_16_64 0
		.amdhsa_float_denorm_mode_32 3
		.amdhsa_float_denorm_mode_16_64 3
		.amdhsa_dx10_clamp 1
		.amdhsa_ieee_mode 1
		.amdhsa_fp16_overflow 0
		.amdhsa_tg_split 0
		.amdhsa_exception_fp_ieee_invalid_op 0
		.amdhsa_exception_fp_denorm_src 0
		.amdhsa_exception_fp_ieee_div_zero 0
		.amdhsa_exception_fp_ieee_overflow 0
		.amdhsa_exception_fp_ieee_underflow 0
		.amdhsa_exception_fp_ieee_inexact 0
		.amdhsa_exception_int_div_zero 0
	.end_amdhsa_kernel
	.section	.text._ZN9rocsparseL19gpsv_strided_gatherILj256EfEEviiiPKT0_PS1_,"axG",@progbits,_ZN9rocsparseL19gpsv_strided_gatherILj256EfEEviiiPKT0_PS1_,comdat
.Lfunc_end0:
	.size	_ZN9rocsparseL19gpsv_strided_gatherILj256EfEEviiiPKT0_PS1_, .Lfunc_end0-_ZN9rocsparseL19gpsv_strided_gatherILj256EfEEviiiPKT0_PS1_
                                        ; -- End function
	.section	.AMDGPU.csdata,"",@progbits
; Kernel info:
; codeLenInByte = 436
; NumSgprs: 18
; NumVgprs: 12
; NumAgprs: 0
; TotalNumVgprs: 12
; ScratchSize: 0
; MemoryBound: 0
; FloatMode: 240
; IeeeMode: 1
; LDSByteSize: 0 bytes/workgroup (compile time only)
; SGPRBlocks: 2
; VGPRBlocks: 1
; NumSGPRsForWavesPerEU: 18
; NumVGPRsForWavesPerEU: 12
; AccumOffset: 12
; Occupancy: 8
; WaveLimiterHint : 0
; COMPUTE_PGM_RSRC2:SCRATCH_EN: 0
; COMPUTE_PGM_RSRC2:USER_SGPR: 6
; COMPUTE_PGM_RSRC2:TRAP_HANDLER: 0
; COMPUTE_PGM_RSRC2:TGID_X_EN: 1
; COMPUTE_PGM_RSRC2:TGID_Y_EN: 0
; COMPUTE_PGM_RSRC2:TGID_Z_EN: 0
; COMPUTE_PGM_RSRC2:TIDIG_COMP_CNT: 0
; COMPUTE_PGM_RSRC3_GFX90A:ACCUM_OFFSET: 2
; COMPUTE_PGM_RSRC3_GFX90A:TG_SPLIT: 0
	.section	.text._ZN9rocsparseL44gpsv_interleaved_batch_householder_qr_kernelILj256EfEEviiiPT0_S2_S2_S2_S2_S2_S2_S2_S2_,"axG",@progbits,_ZN9rocsparseL44gpsv_interleaved_batch_householder_qr_kernelILj256EfEEviiiPT0_S2_S2_S2_S2_S2_S2_S2_S2_,comdat
	.globl	_ZN9rocsparseL44gpsv_interleaved_batch_householder_qr_kernelILj256EfEEviiiPT0_S2_S2_S2_S2_S2_S2_S2_S2_ ; -- Begin function _ZN9rocsparseL44gpsv_interleaved_batch_householder_qr_kernelILj256EfEEviiiPT0_S2_S2_S2_S2_S2_S2_S2_S2_
	.p2align	8
	.type	_ZN9rocsparseL44gpsv_interleaved_batch_householder_qr_kernelILj256EfEEviiiPT0_S2_S2_S2_S2_S2_S2_S2_S2_,@function
_ZN9rocsparseL44gpsv_interleaved_batch_householder_qr_kernelILj256EfEEviiiPT0_S2_S2_S2_S2_S2_S2_S2_S2_: ; @_ZN9rocsparseL44gpsv_interleaved_batch_householder_qr_kernelILj256EfEEviiiPT0_S2_S2_S2_S2_S2_S2_S2_S2_
; %bb.0:
	s_load_dword s0, s[4:5], 0x64
	s_load_dwordx4 s[12:15], s[4:5], 0x0
	s_waitcnt lgkmcnt(0)
	s_and_b32 s0, s0, 0xffff
	s_mul_i32 s15, s6, s0
	v_add_u32_e32 v1, s15, v0
	v_cmp_gt_i32_e32 vcc, s13, v1
	s_and_saveexec_b64 s[0:1], vcc
	s_cbranch_execz .LBB1_22
; %bb.1:
	s_load_dwordx2 s[10:11], s[4:5], 0x50
	s_load_dwordx4 s[16:19], s[4:5], 0x40
	s_load_dwordx4 s[20:23], s[4:5], 0x20
	s_load_dwordx2 s[28:29], s[4:5], 0x30
	s_add_i32 s33, s12, -1
	s_cmp_lt_i32 s12, 2
	s_cbranch_scc1 .LBB1_9
; %bb.2:
	s_load_dwordx4 s[24:27], s[4:5], 0x10
	v_add_u32_e32 v1, s13, v0
	v_lshl_add_u32 v30, s13, 1, v0
	v_add_u32_e32 v31, s14, v0
	v_lshl_add_u32 v32, s14, 1, v0
	s_waitcnt lgkmcnt(0)
	v_mov_b32_e32 v33, s27
	v_mov_b32_e32 v34, s21
	;; [unrolled: 1-line block ×5, first 2 shown]
	s_mov_b32 s36, 0xf800000
	v_mov_b32_e32 v38, 0x260
	v_mov_b32_e32 v39, v0
	s_mov_b32 s37, s33
	v_mov_b32_e32 v40, v0
	s_branch .LBB1_4
.LBB1_3:                                ;   in Loop: Header=BB1_4 Depth=1
	s_or_b64 exec, exec, s[30:31]
	s_add_i32 s37, s37, -1
	v_add_u32_e32 v1, s13, v1
	v_add_u32_e32 v30, s13, v30
	;; [unrolled: 1-line block ×5, first 2 shown]
	s_cmp_eq_u32 s37, 0
	v_add_u32_e32 v39, s14, v39
	s_cbranch_scc1 .LBB1_9
.LBB1_4:                                ; =>This Inner Loop Header: Depth=1
	v_add_u32_e32 v2, s15, v31
	s_waitcnt vmcnt(0)
	v_ashrrev_i32_e32 v3, 31, v2
	v_lshlrev_b64 v[2:3], 2, v[2:3]
	v_add_co_u32_e32 v14, vcc, s26, v2
	v_addc_co_u32_e32 v15, vcc, v33, v3, vcc
	v_add_co_u32_e32 v8, vcc, s20, v2
	v_addc_co_u32_e32 v9, vcc, v34, v3, vcc
	v_add_co_u32_e32 v10, vcc, s22, v2
	v_add_u32_e32 v4, s15, v1
	v_addc_co_u32_e32 v11, vcc, v35, v3, vcc
	v_add_co_u32_e32 v12, vcc, s28, v2
	v_ashrrev_i32_e32 v5, 31, v4
	v_addc_co_u32_e32 v13, vcc, v36, v3, vcc
	v_lshlrev_b64 v[18:19], 2, v[4:5]
	v_add_co_u32_e32 v6, vcc, s10, v18
	v_addc_co_u32_e32 v7, vcc, v37, v19, vcc
	global_load_dword v49, v[14:15], off
	global_load_dword v46, v[8:9], off
	global_load_dword v47, v[10:11], off
	global_load_dword v48, v[12:13], off
	global_load_dword v44, v[6:7], off
	s_cmp_lg_u32 s37, 1
	s_cselect_b64 s[34:35], -1, 0
	s_cmp_eq_u32 s37, 1
	v_add_u32_e32 v4, s15, v32
	v_add_u32_e32 v2, s15, v30
	v_mov_b32_e32 v3, 0
	v_mov_b32_e32 v41, 0
	;; [unrolled: 1-line block ×6, first 2 shown]
	s_cbranch_scc1 .LBB1_6
; %bb.5:                                ;   in Loop: Header=BB1_4 Depth=1
	v_ashrrev_i32_e32 v5, 31, v4
	v_lshlrev_b64 v[16:17], 2, v[4:5]
	v_mov_b32_e32 v3, s25
	v_add_co_u32_e32 v20, vcc, s24, v16
	v_addc_co_u32_e32 v21, vcc, v3, v17, vcc
	global_load_dword v5, v[20:21], off
	v_add_co_u32_e32 v20, vcc, s26, v16
	v_addc_co_u32_e32 v21, vcc, v33, v17, vcc
	global_load_dword v45, v[20:21], off
	;; [unrolled: 3-line block ×3, first 2 shown]
	v_add_co_u32_e32 v20, vcc, s22, v16
	v_addc_co_u32_e32 v21, vcc, v35, v17, vcc
	v_add_co_u32_e32 v16, vcc, s28, v16
	v_addc_co_u32_e32 v17, vcc, v36, v17, vcc
	v_ashrrev_i32_e32 v3, 31, v2
	global_load_dword v41, v[16:17], off
	v_lshlrev_b64 v[16:17], 2, v[2:3]
	v_add_co_u32_e32 v16, vcc, s10, v16
	v_addc_co_u32_e32 v17, vcc, v37, v17, vcc
	global_load_dword v42, v[20:21], off
	global_load_dword v3, v[16:17], off
.LBB1_6:                                ;   in Loop: Header=BB1_4 Depth=1
	s_waitcnt vmcnt(5)
	v_mul_f32_e32 v51, v5, v5
	s_waitcnt vmcnt(4)
	v_fmac_f32_e32 v51, v49, v49
	v_cmp_neq_f32_e32 vcc, 0, v51
	s_and_saveexec_b64 s[30:31], vcc
	s_cbranch_execz .LBB1_3
; %bb.7:                                ;   in Loop: Header=BB1_4 Depth=1
	v_add_u32_e32 v16, s15, v39
	v_ashrrev_i32_e32 v17, 31, v16
	v_lshlrev_b64 v[20:21], 2, v[16:17]
	v_add_co_u32_e32 v16, vcc, s20, v20
	v_mov_b32_e32 v17, s21
	v_addc_co_u32_e32 v17, vcc, v17, v21, vcc
	global_load_dword v50, v[16:17], off
	v_add_u32_e32 v22, s15, v40
	v_mov_b32_e32 v29, s17
	v_add_co_u32_e32 v18, vcc, s16, v18
	v_ashrrev_i32_e32 v23, 31, v22
	v_addc_co_u32_e32 v19, vcc, v29, v19, vcc
	v_lshlrev_b64 v[52:53], 2, v[22:23]
	v_mov_b32_e32 v25, s23
	v_add_co_u32_e32 v22, vcc, s22, v20
	v_add_co_u32_e64 v28, s[2:3], s16, v52
	v_mov_b32_e32 v27, s29
	v_mov_b32_e32 v55, s11
	v_add_co_u32_e64 v24, s[0:1], s28, v20
	v_add_co_u32_e64 v20, s[8:9], s10, v52
	v_addc_co_u32_e32 v23, vcc, v25, v21, vcc
	v_addc_co_u32_e64 v29, vcc, v29, v53, s[2:3]
	v_addc_co_u32_e64 v25, vcc, v27, v21, s[0:1]
	;; [unrolled: 1-line block ×3, first 2 shown]
	global_load_dword v55, v[28:29], off
	v_mov_b32_e32 v54, s19
	v_add_co_u32_e64 v26, s[6:7], s18, v52
	v_addc_co_u32_e64 v27, vcc, v54, v53, s[6:7]
	global_load_dword v56, v[18:19], off
	global_load_dword v53, v[22:23], off
	s_waitcnt vmcnt(3)
	v_fma_f32 v52, v50, v50, v51
	v_cmp_gt_f32_e32 vcc, s36, v52
	v_mul_f32_e32 v54, 0x4f800000, v52
	v_cndmask_b32_e32 v52, v52, v54, vcc
	v_sqrt_f32_e32 v54, v52
	v_cmp_class_f32_e64 s[2:3], v52, v38
	v_cmp_lt_f32_e64 s[0:1], 0, v50
	v_add_u32_e32 v57, -1, v54
	v_add_u32_e32 v58, 1, v54
	v_fma_f32 v59, -v57, v54, v52
	v_fma_f32 v60, -v58, v54, v52
	v_cmp_ge_f32_e64 s[6:7], 0, v59
	v_cmp_lt_f32_e64 s[8:9], 0, v60
	v_cndmask_b32_e64 v54, v54, v57, s[6:7]
	v_cndmask_b32_e64 v54, v54, v58, s[8:9]
	v_mul_f32_e32 v57, 0x37800000, v54
	v_cndmask_b32_e32 v54, v54, v57, vcc
	v_cndmask_b32_e64 v52, v54, v52, s[2:3]
	v_cndmask_b32_e64 v52, -v52, v52, s[0:1]
	v_add_f32_e32 v52, v50, v52
	v_div_scale_f32 v54, s[0:1], v52, v52, v49
	v_rcp_f32_e32 v61, v54
	v_div_scale_f32 v58, s[0:1], v52, v52, v5
	v_rcp_f32_e32 v62, v58
	v_fma_f32 v63, -v54, v61, 1.0
	v_div_scale_f32 v57, vcc, v49, v52, v49
	v_fmac_f32_e32 v61, v63, v61
	v_mul_f32_e32 v60, v52, v52
	v_fma_f32 v64, -v58, v62, 1.0
	v_mul_f32_e32 v63, v57, v61
	v_fmac_f32_e32 v51, v52, v52
	v_add_f32_e32 v60, v60, v60
	v_fmac_f32_e32 v62, v64, v62
	v_fma_f32 v64, -v54, v63, v57
	v_fmac_f32_e32 v63, v64, v61
	v_div_scale_f32 v64, s[2:3], v51, v51, v60
	v_fma_f32 v54, -v54, v63, v57
	v_rcp_f32_e32 v57, v64
	v_div_scale_f32 v59, s[0:1], v5, v52, v5
	v_div_fmas_f32 v54, v54, v61, v63
	v_mul_f32_e32 v61, v59, v62
	v_fma_f32 v63, -v64, v57, 1.0
	v_fmac_f32_e32 v57, v63, v57
	v_fma_f32 v63, -v58, v61, v59
	v_fmac_f32_e32 v61, v63, v62
	v_fma_f32 v58, -v58, v61, v59
	v_div_scale_f32 v59, s[2:3], v60, v51, v60
	s_mov_b64 vcc, s[0:1]
	v_div_fmas_f32 v58, v58, v62, v61
	v_mul_f32_e32 v61, v59, v57
	v_fma_f32 v62, -v64, v61, v59
	global_load_dword v63, v[24:25], off
	v_fmac_f32_e32 v61, v62, v57
	global_load_dword v62, v[26:27], off
	v_fma_f32 v59, -v64, v61, v59
	v_div_fixup_f32 v54, v54, v52, v49
	s_mov_b64 vcc, s[2:3]
	v_div_fixup_f32 v52, v58, v52, v5
	v_div_fmas_f32 v57, v59, v57, v61
	s_waitcnt vmcnt(4)
	v_fma_f32 v58, v54, v48, v55
	v_div_fixup_f32 v51, v57, v51, v60
	v_fmac_f32_e32 v58, v52, v42
	global_load_dword v64, v[20:21], off
	v_fma_f32 v55, -v58, v51, v55
	global_store_dword v[28:29], v55, off
	global_load_dword v55, v[18:19], off
	v_fma_f32 v57, v54, v54, 1.0
	v_fma_f32 v49, v54, v49, v50
	s_waitcnt vmcnt(5)
	v_fma_f32 v59, v54, v46, v53
	v_fmac_f32_e32 v57, v52, v52
	v_fmac_f32_e32 v49, v52, v5
	;; [unrolled: 1-line block ×3, first 2 shown]
	v_div_scale_f32 v5, s[0:1], v57, v57, 2.0
	global_store_dword v[14:15], v54, off
	v_mul_f32_e32 v29, v59, v51
	v_mul_f32_e32 v15, v58, v51
	v_fma_f32 v49, -v49, v51, v50
	v_fma_f32 v50, -v59, v51, v53
	v_div_scale_f32 v65, vcc, 2.0, v57, 2.0
	s_waitcnt vmcnt(5)
	v_fma_f32 v60, v54, v47, v63
	v_fmac_f32_e32 v60, v52, v43
	s_waitcnt vmcnt(4)
	v_fma_f32 v56, v54, v56, v62
	v_fmac_f32_e32 v56, v52, v41
	v_mul_f32_e32 v28, v60, v51
	v_mul_f32_e32 v14, v56, v51
	v_fma_f32 v53, -v60, v51, v63
	v_fma_f32 v51, -v56, v51, v62
	v_rcp_f32_e32 v56, v5
	global_store_dword v[16:17], v49, off
	global_store_dword v[22:23], v50, off
	global_store_dword v[24:25], v53, off
	global_store_dword v[26:27], v51, off
	v_fma_f32 v16, -v29, v54, v46
	v_fma_f32 v17, -v28, v54, v47
	;; [unrolled: 1-line block ×3, first 2 shown]
	global_store_dword v[8:9], v16, off
	global_store_dword v[10:11], v17, off
	;; [unrolled: 1-line block ×3, first 2 shown]
	v_fma_f32 v8, -v5, v56, 1.0
	v_fmac_f32_e32 v56, v8, v56
	v_mul_f32_e32 v8, v65, v56
	v_fma_f32 v9, -v5, v8, v65
	v_fmac_f32_e32 v8, v9, v56
	v_fma_f32 v5, -v5, v8, v65
	s_waitcnt vmcnt(10)
	v_fma_f32 v61, v54, v44, v64
	v_div_fmas_f32 v5, v5, v56, v8
	v_fmac_f32_e32 v61, v52, v3
	v_div_fixup_f32 v5, v5, v57, 2.0
	s_andn2_b64 vcc, exec, s[34:35]
	v_mul_f32_e32 v8, v61, v5
	v_fma_f32 v5, -v61, v5, v64
	s_waitcnt vmcnt(8)
	v_fma_f32 v9, -v14, v54, v55
	global_store_dword v[20:21], v5, off
	v_fma_f32 v5, -v54, v8, v44
	global_store_dword v[18:19], v9, off
	global_store_dword v[6:7], v5, off
	s_cbranch_vccnz .LBB1_3
; %bb.8:                                ;   in Loop: Header=BB1_4 Depth=1
	v_ashrrev_i32_e32 v5, 31, v4
	v_lshlrev_b64 v[4:5], 2, v[4:5]
	v_mov_b32_e32 v7, s25
	v_add_co_u32_e32 v6, vcc, s24, v4
	v_addc_co_u32_e32 v7, vcc, v7, v5, vcc
	global_store_dword v[6:7], v52, off
	v_mov_b32_e32 v7, s27
	v_add_co_u32_e32 v6, vcc, s26, v4
	v_fma_f32 v9, -v29, v52, v45
	v_addc_co_u32_e32 v7, vcc, v7, v5, vcc
	global_store_dword v[6:7], v9, off
	v_mov_b32_e32 v7, s21
	v_add_co_u32_e32 v6, vcc, s20, v4
	v_fma_f32 v9, -v28, v52, v43
	;; [unrolled: 5-line block ×4, first 2 shown]
	v_addc_co_u32_e32 v5, vcc, v7, v5, vcc
	global_store_dword v[4:5], v6, off
	v_fma_f32 v4, -v52, v8, v3
	v_ashrrev_i32_e32 v3, 31, v2
	v_lshlrev_b64 v[2:3], 2, v[2:3]
	v_mov_b32_e32 v5, s11
	v_add_co_u32_e32 v2, vcc, s10, v2
	v_addc_co_u32_e32 v3, vcc, v5, v3, vcc
	global_store_dword v[2:3], v4, off
	s_branch .LBB1_3
.LBB1_9:
	s_cmp_lt_i32 s12, 1
	s_cbranch_scc1 .LBB1_22
; %bb.10:
	s_mul_i32 s2, s13, s33
	v_add_u32_e32 v4, s2, v0
	s_add_i32 s2, s12, 3
	s_mul_i32 s2, s14, s2
	v_add_u32_e32 v5, s2, v0
	s_add_i32 s2, s12, 2
	s_mul_i32 s2, s14, s2
	s_load_dwordx2 s[0:1], s[4:5], 0x38
	v_add_u32_e32 v6, s2, v0
	s_add_i32 s2, s12, 1
	s_mul_i32 s2, s14, s2
	v_add_u32_e32 v7, s2, v0
	s_mul_i32 s2, s14, s12
	v_add_u32_e32 v8, s2, v0
	;; [unrolled: 2-line block ×3, first 2 shown]
	s_mov_b32 s4, s12
	s_branch .LBB1_12
.LBB1_11:                               ;   in Loop: Header=BB1_12 Depth=1
	s_waitcnt lgkmcnt(0)
	v_mov_b32_e32 v11, s11
	v_add_co_u32_e32 v2, vcc, s10, v2
	v_addc_co_u32_e32 v3, vcc, v11, v3, vcc
	v_lshlrev_b64 v[0:1], 2, v[0:1]
	global_load_dword v11, v[2:3], off
	v_mov_b32_e32 v3, s21
	v_add_co_u32_e32 v2, vcc, s20, v0
	v_addc_co_u32_e32 v3, vcc, v3, v1, vcc
	global_load_dword v2, v[2:3], off
	v_mov_b32_e32 v3, s1
	v_add_co_u32_e32 v0, vcc, s0, v0
	v_addc_co_u32_e32 v1, vcc, v3, v1, vcc
	s_add_i32 s4, s4, -1
	v_subrev_u32_e32 v4, s13, v4
	v_subrev_u32_e32 v5, s14, v5
	;; [unrolled: 1-line block ×5, first 2 shown]
	s_cmp_gt_i32 s4, 0
	v_subrev_u32_e32 v9, s14, v9
	s_waitcnt vmcnt(1)
	v_sub_f32_e32 v3, v11, v10
	s_waitcnt vmcnt(0)
	v_div_scale_f32 v10, s[2:3], v2, v2, v3
	v_rcp_f32_e32 v11, v10
	v_div_scale_f32 v12, vcc, v3, v2, v3
	v_fma_f32 v13, -v10, v11, 1.0
	v_fmac_f32_e32 v11, v13, v11
	v_mul_f32_e32 v13, v12, v11
	v_fma_f32 v14, -v10, v13, v12
	v_fmac_f32_e32 v13, v14, v11
	v_fma_f32 v10, -v10, v13, v12
	v_div_fmas_f32 v10, v10, v11, v13
	v_div_fixup_f32 v2, v10, v2, v3
	global_store_dword v[0:1], v2, off
	s_cbranch_scc0 .LBB1_22
.LBB1_12:                               ; =>This Inner Loop Header: Depth=1
	v_add_u32_e32 v0, s15, v9
	s_cmp_ge_i32 s4, s12
	v_ashrrev_i32_e32 v1, 31, v0
	v_mov_b32_e32 v10, 0
	s_cbranch_scc1 .LBB1_14
; %bb.13:                               ;   in Loop: Header=BB1_12 Depth=1
	s_waitcnt vmcnt(0)
	v_lshlrev_b64 v[2:3], 2, v[0:1]
	s_waitcnt lgkmcnt(0)
	v_mov_b32_e32 v10, s23
	v_add_co_u32_e32 v2, vcc, s22, v2
	v_addc_co_u32_e32 v3, vcc, v10, v3, vcc
	global_load_dword v10, v[2:3], off
	v_add_u32_e32 v2, s15, v8
	v_ashrrev_i32_e32 v3, 31, v2
	v_lshlrev_b64 v[2:3], 2, v[2:3]
	v_mov_b32_e32 v11, s1
	v_add_co_u32_e32 v2, vcc, s0, v2
	v_addc_co_u32_e32 v3, vcc, v11, v3, vcc
	global_load_dword v2, v[2:3], off
	s_waitcnt vmcnt(0)
	v_fma_f32 v10, v10, v2, 0
.LBB1_14:                               ;   in Loop: Header=BB1_12 Depth=1
	s_add_i32 s2, s4, 1
	s_cmp_ge_i32 s2, s12
	s_cbranch_scc1 .LBB1_16
; %bb.15:                               ;   in Loop: Header=BB1_12 Depth=1
	s_waitcnt vmcnt(0)
	v_lshlrev_b64 v[2:3], 2, v[0:1]
	s_waitcnt lgkmcnt(0)
	v_mov_b32_e32 v11, s29
	v_add_co_u32_e32 v2, vcc, s28, v2
	v_addc_co_u32_e32 v3, vcc, v11, v3, vcc
	global_load_dword v11, v[2:3], off
	v_add_u32_e32 v2, s15, v7
	v_ashrrev_i32_e32 v3, 31, v2
	v_lshlrev_b64 v[2:3], 2, v[2:3]
	v_mov_b32_e32 v12, s1
	v_add_co_u32_e32 v2, vcc, s0, v2
	v_addc_co_u32_e32 v3, vcc, v12, v3, vcc
	global_load_dword v2, v[2:3], off
	s_waitcnt vmcnt(0)
	v_fmac_f32_e32 v10, v11, v2
.LBB1_16:                               ;   in Loop: Header=BB1_12 Depth=1
	v_add_u32_e32 v2, s15, v4
	s_add_i32 s2, s4, 2
	s_cmp_lt_i32 s2, s12
	s_waitcnt vmcnt(0)
	v_ashrrev_i32_e32 v3, 31, v2
	s_cbranch_scc1 .LBB1_21
; %bb.17:                               ;   in Loop: Header=BB1_12 Depth=1
	s_cbranch_execnz .LBB1_19
.LBB1_18:                               ;   in Loop: Header=BB1_12 Depth=1
	v_lshlrev_b64 v[12:13], 2, v[2:3]
	s_waitcnt lgkmcnt(0)
	v_mov_b32_e32 v11, s17
	v_add_co_u32_e32 v12, vcc, s16, v12
	v_addc_co_u32_e32 v13, vcc, v11, v13, vcc
	global_load_dword v11, v[12:13], off
	v_add_u32_e32 v12, s15, v6
	v_ashrrev_i32_e32 v13, 31, v12
	v_lshlrev_b64 v[12:13], 2, v[12:13]
	v_mov_b32_e32 v14, s1
	v_add_co_u32_e32 v12, vcc, s0, v12
	v_addc_co_u32_e32 v13, vcc, v14, v13, vcc
	global_load_dword v12, v[12:13], off
	s_waitcnt vmcnt(0)
	v_fmac_f32_e32 v10, v11, v12
.LBB1_19:                               ;   in Loop: Header=BB1_12 Depth=1
	s_add_i32 s2, s4, 3
	s_cmp_ge_i32 s2, s12
	v_lshlrev_b64 v[2:3], 2, v[2:3]
	s_cbranch_scc1 .LBB1_11
; %bb.20:                               ;   in Loop: Header=BB1_12 Depth=1
	s_waitcnt lgkmcnt(0)
	v_mov_b32_e32 v11, s19
	v_add_co_u32_e32 v12, vcc, s18, v2
	v_addc_co_u32_e32 v13, vcc, v11, v3, vcc
	global_load_dword v11, v[12:13], off
	v_add_u32_e32 v12, s15, v5
	v_ashrrev_i32_e32 v13, 31, v12
	v_lshlrev_b64 v[12:13], 2, v[12:13]
	v_mov_b32_e32 v14, s1
	v_add_co_u32_e32 v12, vcc, s0, v12
	v_addc_co_u32_e32 v13, vcc, v14, v13, vcc
	global_load_dword v12, v[12:13], off
	s_waitcnt vmcnt(0)
	v_fmac_f32_e32 v10, v11, v12
	s_branch .LBB1_11
.LBB1_21:                               ;   in Loop: Header=BB1_12 Depth=1
	s_branch .LBB1_18
.LBB1_22:
	s_endpgm
	.section	.rodata,"a",@progbits
	.p2align	6, 0x0
	.amdhsa_kernel _ZN9rocsparseL44gpsv_interleaved_batch_householder_qr_kernelILj256EfEEviiiPT0_S2_S2_S2_S2_S2_S2_S2_S2_
		.amdhsa_group_segment_fixed_size 0
		.amdhsa_private_segment_fixed_size 0
		.amdhsa_kernarg_size 344
		.amdhsa_user_sgpr_count 6
		.amdhsa_user_sgpr_private_segment_buffer 1
		.amdhsa_user_sgpr_dispatch_ptr 0
		.amdhsa_user_sgpr_queue_ptr 0
		.amdhsa_user_sgpr_kernarg_segment_ptr 1
		.amdhsa_user_sgpr_dispatch_id 0
		.amdhsa_user_sgpr_flat_scratch_init 0
		.amdhsa_user_sgpr_kernarg_preload_length 0
		.amdhsa_user_sgpr_kernarg_preload_offset 0
		.amdhsa_user_sgpr_private_segment_size 0
		.amdhsa_uses_dynamic_stack 0
		.amdhsa_system_sgpr_private_segment_wavefront_offset 0
		.amdhsa_system_sgpr_workgroup_id_x 1
		.amdhsa_system_sgpr_workgroup_id_y 0
		.amdhsa_system_sgpr_workgroup_id_z 0
		.amdhsa_system_sgpr_workgroup_info 0
		.amdhsa_system_vgpr_workitem_id 0
		.amdhsa_next_free_vgpr 66
		.amdhsa_next_free_sgpr 38
		.amdhsa_accum_offset 68
		.amdhsa_reserve_vcc 1
		.amdhsa_reserve_flat_scratch 0
		.amdhsa_float_round_mode_32 0
		.amdhsa_float_round_mode_16_64 0
		.amdhsa_float_denorm_mode_32 3
		.amdhsa_float_denorm_mode_16_64 3
		.amdhsa_dx10_clamp 1
		.amdhsa_ieee_mode 1
		.amdhsa_fp16_overflow 0
		.amdhsa_tg_split 0
		.amdhsa_exception_fp_ieee_invalid_op 0
		.amdhsa_exception_fp_denorm_src 0
		.amdhsa_exception_fp_ieee_div_zero 0
		.amdhsa_exception_fp_ieee_overflow 0
		.amdhsa_exception_fp_ieee_underflow 0
		.amdhsa_exception_fp_ieee_inexact 0
		.amdhsa_exception_int_div_zero 0
	.end_amdhsa_kernel
	.section	.text._ZN9rocsparseL44gpsv_interleaved_batch_householder_qr_kernelILj256EfEEviiiPT0_S2_S2_S2_S2_S2_S2_S2_S2_,"axG",@progbits,_ZN9rocsparseL44gpsv_interleaved_batch_householder_qr_kernelILj256EfEEviiiPT0_S2_S2_S2_S2_S2_S2_S2_S2_,comdat
.Lfunc_end1:
	.size	_ZN9rocsparseL44gpsv_interleaved_batch_householder_qr_kernelILj256EfEEviiiPT0_S2_S2_S2_S2_S2_S2_S2_S2_, .Lfunc_end1-_ZN9rocsparseL44gpsv_interleaved_batch_householder_qr_kernelILj256EfEEviiiPT0_S2_S2_S2_S2_S2_S2_S2_S2_
                                        ; -- End function
	.section	.AMDGPU.csdata,"",@progbits
; Kernel info:
; codeLenInByte = 2372
; NumSgprs: 42
; NumVgprs: 66
; NumAgprs: 0
; TotalNumVgprs: 66
; ScratchSize: 0
; MemoryBound: 0
; FloatMode: 240
; IeeeMode: 1
; LDSByteSize: 0 bytes/workgroup (compile time only)
; SGPRBlocks: 5
; VGPRBlocks: 8
; NumSGPRsForWavesPerEU: 42
; NumVGPRsForWavesPerEU: 66
; AccumOffset: 68
; Occupancy: 7
; WaveLimiterHint : 0
; COMPUTE_PGM_RSRC2:SCRATCH_EN: 0
; COMPUTE_PGM_RSRC2:USER_SGPR: 6
; COMPUTE_PGM_RSRC2:TRAP_HANDLER: 0
; COMPUTE_PGM_RSRC2:TGID_X_EN: 1
; COMPUTE_PGM_RSRC2:TGID_Y_EN: 0
; COMPUTE_PGM_RSRC2:TGID_Z_EN: 0
; COMPUTE_PGM_RSRC2:TIDIG_COMP_CNT: 0
; COMPUTE_PGM_RSRC3_GFX90A:ACCUM_OFFSET: 16
; COMPUTE_PGM_RSRC3_GFX90A:TG_SPLIT: 0
	.section	.text._ZN9rocsparseL39gpsv_interleaved_batch_givens_qr_kernelILj128EfEEviiiPT0_S2_S2_S2_S2_S2_S2_S2_,"axG",@progbits,_ZN9rocsparseL39gpsv_interleaved_batch_givens_qr_kernelILj128EfEEviiiPT0_S2_S2_S2_S2_S2_S2_S2_,comdat
	.globl	_ZN9rocsparseL39gpsv_interleaved_batch_givens_qr_kernelILj128EfEEviiiPT0_S2_S2_S2_S2_S2_S2_S2_ ; -- Begin function _ZN9rocsparseL39gpsv_interleaved_batch_givens_qr_kernelILj128EfEEviiiPT0_S2_S2_S2_S2_S2_S2_S2_
	.p2align	8
	.type	_ZN9rocsparseL39gpsv_interleaved_batch_givens_qr_kernelILj128EfEEviiiPT0_S2_S2_S2_S2_S2_S2_S2_,@function
_ZN9rocsparseL39gpsv_interleaved_batch_givens_qr_kernelILj128EfEEviiiPT0_S2_S2_S2_S2_S2_S2_S2_: ; @_ZN9rocsparseL39gpsv_interleaved_batch_givens_qr_kernelILj128EfEEviiiPT0_S2_S2_S2_S2_S2_S2_S2_
; %bb.0:
	s_load_dwordx4 s[16:19], s[4:5], 0x0
	s_lshl_b32 s6, s6, 7
	v_or_b32_e32 v1, s6, v0
	s_waitcnt lgkmcnt(0)
	v_cmp_gt_i32_e32 vcc, s17, v1
	s_and_saveexec_b64 s[0:1], vcc
	s_cbranch_execz .LBB2_7
; %bb.1:
	s_load_dwordx2 s[2:3], s[4:5], 0x48
	s_load_dwordx4 s[20:23], s[4:5], 0x38
	s_load_dwordx8 s[8:15], s[4:5], 0x18
	s_add_i32 s7, s16, -2
	s_cmp_lt_i32 s16, 3
	s_cbranch_scc1 .LBB2_4
; %bb.2:
	s_load_dwordx2 s[4:5], s[4:5], 0x10
	s_lshl_b32 s19, s18, 1
	s_waitcnt lgkmcnt(0)
	v_mov_b32_e32 v10, s9
	v_mov_b32_e32 v11, s11
	;; [unrolled: 1-line block ×5, first 2 shown]
	s_mov_b32 s5, 0xf800000
	v_mov_b32_e32 v15, 0x260
	v_mov_b32_e32 v16, s21
	;; [unrolled: 1-line block ×5, first 2 shown]
	s_mov_b32 s24, s7
	v_mov_b32_e32 v4, v1
.LBB2_3:                                ; =>This Inner Loop Header: Depth=1
	v_ashrrev_i32_e32 v3, 31, v2
	v_lshlrev_b64 v[22:23], 2, v[2:3]
	v_add_co_u32_e32 v26, vcc, s10, v22
	v_addc_co_u32_e32 v27, vcc, v11, v23, vcc
	v_add_co_u32_e32 v28, vcc, s12, v22
	v_addc_co_u32_e32 v29, vcc, v12, v23, vcc
	v_ashrrev_i32_e32 v5, 31, v4
	v_add_co_u32_e32 v30, vcc, s14, v22
	v_lshlrev_b64 v[24:25], 2, v[4:5]
	v_addc_co_u32_e32 v31, vcc, v14, v23, vcc
	v_add_co_u32_e32 v32, vcc, s20, v24
	v_addc_co_u32_e32 v33, vcc, v16, v25, vcc
	v_add_co_u32_e32 v24, vcc, s22, v24
	v_add_u32_e32 v8, s19, v2
	v_addc_co_u32_e32 v25, vcc, v18, v25, vcc
	v_ashrrev_i32_e32 v9, 31, v8
	v_add_co_u32_e32 v22, vcc, s2, v22
	v_add_u32_e32 v6, s18, v2
	v_lshlrev_b64 v[8:9], 2, v[8:9]
	v_addc_co_u32_e32 v23, vcc, v17, v23, vcc
	v_ashrrev_i32_e32 v7, 31, v6
	v_add_co_u32_e32 v34, vcc, s4, v8
	v_mov_b32_e32 v2, v6
	v_lshlrev_b64 v[6:7], 2, v[6:7]
	v_addc_co_u32_e32 v35, vcc, v13, v9, vcc
	v_add_co_u32_e32 v36, vcc, s8, v6
	v_addc_co_u32_e32 v37, vcc, v10, v7, vcc
	v_add_co_u32_e32 v38, vcc, s8, v8
	;; [unrolled: 2-line block ×4, first 2 shown]
	v_addc_co_u32_e32 v43, vcc, v11, v9, vcc
	global_load_dword v3, v[34:35], off
	global_load_dword v5, v[36:37], off
	;; [unrolled: 1-line block ×5, first 2 shown]
	v_add_co_u32_e32 v44, vcc, s12, v6
	v_addc_co_u32_e32 v45, vcc, v12, v7, vcc
	v_add_co_u32_e32 v46, vcc, s12, v8
	v_addc_co_u32_e32 v47, vcc, v12, v9, vcc
	v_add_co_u32_e32 v48, vcc, s14, v6
	v_add_u32_e32 v20, s17, v4
	v_addc_co_u32_e32 v49, vcc, v14, v7, vcc
	v_ashrrev_i32_e32 v21, 31, v20
	v_add_co_u32_e32 v50, vcc, s14, v8
	v_mov_b32_e32 v4, v20
	v_lshlrev_b64 v[20:21], 2, v[20:21]
	v_addc_co_u32_e32 v51, vcc, v14, v9, vcc
	v_add_co_u32_e32 v20, vcc, s20, v20
	v_addc_co_u32_e32 v21, vcc, v16, v21, vcc
	v_add_co_u32_e32 v6, vcc, s2, v6
	;; [unrolled: 2-line block ×3, first 2 shown]
	v_addc_co_u32_e32 v9, vcc, v17, v9, vcc
	s_add_i32 s24, s24, -1
	s_cmp_eq_u32 s24, 0
	s_waitcnt vmcnt(4)
	v_mul_f32_e32 v34, v3, v3
	s_waitcnt vmcnt(3)
	v_fmac_f32_e32 v34, v5, v5
	v_mul_f32_e32 v35, 0x4f800000, v34
	v_cmp_gt_f32_e32 vcc, s5, v34
	v_cndmask_b32_e32 v34, v34, v35, vcc
	v_sqrt_f32_e32 v35, v34
	v_add_u32_e32 v54, -1, v35
	v_add_u32_e32 v55, 1, v35
	v_fma_f32 v56, -v54, v35, v34
	v_fma_f32 v57, -v55, v35, v34
	v_cmp_ge_f32_e64 s[0:1], 0, v56
	v_cndmask_b32_e64 v35, v35, v54, s[0:1]
	v_cmp_lt_f32_e64 s[0:1], 0, v57
	v_cndmask_b32_e64 v35, v35, v55, s[0:1]
	v_mul_f32_e32 v54, 0x37800000, v35
	v_cndmask_b32_e32 v35, v35, v54, vcc
	v_cmp_class_f32_e32 vcc, v34, v15
	v_cndmask_b32_e32 v34, v35, v34, vcc
	v_div_scale_f32 v35, s[0:1], v34, v34, v5
	v_rcp_f32_e32 v56, v35
	v_div_scale_f32 v55, s[0:1], v34, v34, v3
	v_rcp_f32_e32 v57, v55
	v_fma_f32 v58, -v35, v56, 1.0
	v_div_scale_f32 v54, vcc, v5, v34, v5
	v_fmac_f32_e32 v56, v58, v56
	v_fma_f32 v59, -v55, v57, 1.0
	v_mul_f32_e32 v58, v54, v56
	v_fmac_f32_e32 v57, v59, v57
	v_fma_f32 v59, -v35, v58, v54
	v_fmac_f32_e32 v58, v59, v56
	v_fma_f32 v35, -v35, v58, v54
	v_div_scale_f32 v54, s[0:1], v3, v34, v3
	v_div_fmas_f32 v35, v35, v56, v58
	v_mul_f32_e32 v56, v54, v57
	v_fma_f32 v58, -v55, v56, v54
	v_fmac_f32_e32 v56, v58, v57
	global_load_dword v59, v[44:45], off
	global_load_dword v58, v[46:47], off
	v_fma_f32 v54, -v55, v56, v54
	s_mov_b64 vcc, s[0:1]
	global_load_dword v55, v[48:49], off
	v_div_fmas_f32 v54, v54, v57, v56
	global_load_dword v56, v[6:7], off
	global_load_dword v57, v[8:9], off
	v_div_fixup_f32 v35, v35, v34, v5
	v_div_fixup_f32 v34, v54, v34, v3
	global_load_dword v54, v[50:51], off
	v_mul_f32_e32 v3, v3, v34
	v_fmac_f32_e32 v3, v5, v35
	s_waitcnt vmcnt(8)
	v_mul_f32_e32 v5, v19, v35
	v_mul_f32_e32 v19, v19, v34
	s_waitcnt vmcnt(7)
	v_fma_f32 v5, -v52, v34, v5
	v_fmac_f32_e32 v19, v52, v35
	s_waitcnt vmcnt(6)
	v_mul_f32_e32 v52, v53, v35
	v_mul_f32_e32 v53, v53, v34
	s_waitcnt vmcnt(5)
	v_fma_f32 v52, -v59, v34, v52
	;; [unrolled: 6-line block ×3, first 2 shown]
	v_fmac_f32_e32 v58, v55, v35
	s_waitcnt vmcnt(1)
	v_mul_f32_e32 v55, v35, v57
	v_mul_f32_e32 v57, v34, v57
	v_fma_f32 v55, -v56, v34, v55
	s_waitcnt vmcnt(0)
	v_mul_f32_e32 v34, v34, v54
	v_mul_f32_e32 v54, v35, v54
	global_store_dword v[20:21], v34, off
	v_fmac_f32_e32 v57, v56, v35
	global_store_dword v[36:37], v3, off
	global_store_dword v[38:39], v5, off
	;; [unrolled: 1-line block ×9, first 2 shown]
	global_load_dword v5, v[26:27], off
	s_nop 0
	global_store_dword v[8:9], v55, off
	global_load_dword v8, v[32:33], off
	s_nop 0
	global_load_dword v35, v[6:7], off
	global_load_dword v36, v[28:29], off
	;; [unrolled: 1-line block ×4, first 2 shown]
	v_mul_f32_e32 v9, v3, v3
	s_waitcnt vmcnt(6)
	v_fmac_f32_e32 v9, v5, v5
	v_mul_f32_e32 v39, 0x4f800000, v9
	v_cmp_gt_f32_e32 vcc, s5, v9
	v_cndmask_b32_e32 v9, v9, v39, vcc
	v_sqrt_f32_e32 v39, v9
	v_add_u32_e32 v42, -1, v39
	v_add_u32_e32 v43, 1, v39
	v_fma_f32 v46, -v42, v39, v9
	v_fma_f32 v47, -v43, v39, v9
	v_cmp_ge_f32_e64 s[0:1], 0, v46
	v_cndmask_b32_e64 v39, v39, v42, s[0:1]
	v_cmp_lt_f32_e64 s[0:1], 0, v47
	v_cndmask_b32_e64 v39, v39, v43, s[0:1]
	v_mul_f32_e32 v42, 0x37800000, v39
	v_cndmask_b32_e32 v39, v39, v42, vcc
	v_cmp_class_f32_e32 vcc, v9, v15
	v_cndmask_b32_e32 v9, v39, v9, vcc
	v_div_scale_f32 v39, s[0:1], v9, v9, v5
	v_div_scale_f32 v43, s[0:1], v9, v9, v3
	v_rcp_f32_e32 v47, v39
	v_rcp_f32_e32 v50, v43
	v_div_scale_f32 v42, vcc, v5, v9, v5
	v_fma_f32 v51, -v39, v47, 1.0
	v_fma_f32 v52, -v43, v50, 1.0
	v_fmac_f32_e32 v47, v51, v47
	v_div_scale_f32 v46, s[0:1], v3, v9, v3
	v_fmac_f32_e32 v50, v52, v50
	v_mul_f32_e32 v51, v42, v47
	v_mul_f32_e32 v52, v46, v50
	v_fma_f32 v54, -v39, v51, v42
	v_fma_f32 v55, -v43, v52, v46
	v_fmac_f32_e32 v51, v54, v47
	v_fmac_f32_e32 v52, v55, v50
	v_fma_f32 v39, -v39, v51, v42
	v_fma_f32 v42, -v43, v52, v46
	v_div_fmas_f32 v39, v39, v47, v51
	s_mov_b64 vcc, s[0:1]
	v_div_fmas_f32 v42, v42, v50, v52
	v_div_fixup_f32 v39, v39, v9, v5
	v_div_fixup_f32 v9, v42, v9, v3
	v_mul_f32_e32 v3, v3, v9
	v_mul_f32_e32 v42, v19, v39
	v_mul_f32_e32 v43, v53, v39
	v_mul_f32_e32 v46, v58, v39
	v_mul_f32_e32 v47, v34, v39
	s_waitcnt vmcnt(3)
	v_mul_f32_e32 v50, v39, v35
	v_mul_f32_e32 v19, v19, v9
	;; [unrolled: 1-line block ×6, first 2 shown]
	v_fmac_f32_e32 v3, v5, v39
	s_waitcnt vmcnt(2)
	v_fma_f32 v42, -v36, v9, v42
	s_waitcnt vmcnt(1)
	v_fma_f32 v43, -v37, v9, v43
	v_fma_f32 v46, -v8, v9, v46
	s_waitcnt vmcnt(0)
	v_fma_f32 v9, -v38, v9, v50
	v_fmac_f32_e32 v19, v36, v39
	v_fmac_f32_e32 v51, v37, v39
	;; [unrolled: 1-line block ×3, first 2 shown]
	global_store_dword v[24:25], v34, off
	v_fmac_f32_e32 v35, v38, v39
	global_store_dword v[26:27], v3, off
	global_store_dword v[40:41], v42, off
	;; [unrolled: 1-line block ×10, first 2 shown]
	s_cbranch_scc0 .LBB2_3
.LBB2_4:
	s_add_i32 s4, s16, -1
	s_mul_i32 s4, s4, s18
	v_add_u32_e32 v2, s4, v1
	v_ashrrev_i32_e32 v3, 31, v2
	v_lshlrev_b64 v[10:11], 2, v[2:3]
	s_waitcnt lgkmcnt(0)
	v_mov_b32_e32 v3, s9
	v_add_co_u32_e32 v2, vcc, s8, v10
	v_addc_co_u32_e32 v3, vcc, v3, v11, vcc
	s_sub_i32 s5, s4, s18
	global_load_dword v24, v[2:3], off
	v_add_u32_e32 v2, s5, v1
	v_ashrrev_i32_e32 v3, 31, v2
	v_lshlrev_b64 v[4:5], 2, v[2:3]
	v_mov_b32_e32 v26, s11
	v_add_co_u32_e32 v6, vcc, s10, v4
	v_addc_co_u32_e32 v7, vcc, v26, v5, vcc
	global_load_dword v25, v[6:7], off
	v_add_co_u32_e32 v12, vcc, s10, v10
	v_addc_co_u32_e32 v13, vcc, v26, v11, vcc
	v_mov_b32_e32 v27, s13
	v_add_co_u32_e32 v14, vcc, s12, v10
	v_addc_co_u32_e32 v15, vcc, v27, v11, vcc
	v_mov_b32_e32 v29, s3
	v_add_co_u32_e32 v2, vcc, s2, v10
	v_addc_co_u32_e32 v3, vcc, v29, v11, vcc
	v_add_co_u32_e32 v16, vcc, s12, v4
	v_addc_co_u32_e32 v17, vcc, v27, v5, vcc
	v_mov_b32_e32 v28, s15
	v_add_co_u32_e32 v18, vcc, s14, v4
	v_addc_co_u32_e32 v19, vcc, v28, v5, vcc
	global_load_dword v30, v[12:13], off
	global_load_dword v31, v[16:17], off
	;; [unrolled: 1-line block ×4, first 2 shown]
	v_add_co_u32_e32 v4, vcc, s2, v4
	v_addc_co_u32_e32 v5, vcc, v29, v5, vcc
	global_load_dword v34, v[2:3], off
	global_load_dword v35, v[4:5], off
	s_mul_i32 s0, s7, s17
	v_add_u32_e32 v20, s0, v1
	v_ashrrev_i32_e32 v21, 31, v20
	v_lshlrev_b64 v[8:9], 2, v[20:21]
	v_mov_b32_e32 v36, s21
	v_add_co_u32_e32 v22, vcc, s20, v8
	s_mov_b32 s1, 0xf800000
	v_addc_co_u32_e32 v23, vcc, v36, v9, vcc
	v_mov_b32_e32 v37, 0x260
	s_sub_i32 s5, s5, s18
	s_waitcnt vmcnt(7)
	v_mul_f32_e32 v21, v24, v24
	s_waitcnt vmcnt(6)
	v_fmac_f32_e32 v21, v25, v25
	v_mul_f32_e32 v38, 0x4f800000, v21
	v_cmp_gt_f32_e32 vcc, s1, v21
	v_cndmask_b32_e32 v21, v21, v38, vcc
	v_sqrt_f32_e32 v38, v21
	v_add_co_u32_e64 v10, s[0:1], s14, v10
	v_addc_co_u32_e64 v11, s[0:1], v28, v11, s[0:1]
	v_add_u32_e32 v41, -1, v38
	v_add_u32_e32 v42, 1, v38
	v_fma_f32 v43, -v41, v38, v21
	v_fma_f32 v44, -v42, v38, v21
	v_cmp_ge_f32_e64 s[0:1], 0, v43
	v_cndmask_b32_e64 v38, v38, v41, s[0:1]
	v_cmp_lt_f32_e64 s[0:1], 0, v44
	v_cndmask_b32_e64 v38, v38, v42, s[0:1]
	v_mul_f32_e32 v41, 0x37800000, v38
	v_cndmask_b32_e32 v38, v38, v41, vcc
	v_cmp_class_f32_e32 vcc, v21, v37
	v_cndmask_b32_e32 v21, v38, v21, vcc
	v_div_scale_f32 v37, s[0:1], v21, v21, v25
	v_div_scale_f32 v41, s[0:1], v21, v21, v24
	v_rcp_f32_e32 v42, v37
	v_rcp_f32_e32 v43, v41
	v_div_scale_f32 v38, vcc, v25, v21, v25
	v_fma_f32 v45, -v37, v42, 1.0
	v_fma_f32 v46, -v41, v43, 1.0
	v_fmac_f32_e32 v42, v45, v42
	v_div_scale_f32 v44, s[0:1], v24, v21, v24
	v_fmac_f32_e32 v43, v46, v43
	v_mul_f32_e32 v45, v38, v42
	v_mul_f32_e32 v46, v44, v43
	v_fma_f32 v47, -v37, v45, v38
	v_fma_f32 v48, -v41, v46, v44
	v_fmac_f32_e32 v45, v47, v42
	v_fmac_f32_e32 v46, v48, v43
	v_fma_f32 v37, -v37, v45, v38
	v_fma_f32 v38, -v41, v46, v44
	v_div_fmas_f32 v37, v37, v42, v45
	s_mov_b64 vcc, s[0:1]
	v_div_fmas_f32 v38, v38, v43, v46
	v_div_fixup_f32 v38, v38, v21, v24
	v_div_fixup_f32 v37, v37, v21, v25
	v_mul_f32_e32 v21, v24, v38
	s_waitcnt vmcnt(5)
	v_mul_f32_e32 v24, v30, v38
	s_waitcnt vmcnt(4)
	v_fmac_f32_e32 v24, v31, v37
	global_load_dword v39, v[22:23], off
	global_load_dword v40, v[10:11], off
	v_fmac_f32_e32 v21, v25, v37
	global_store_dword v[16:17], v24, off
	s_waitcnt vmcnt(6)
	v_mul_f32_e32 v24, v32, v37
	s_waitcnt vmcnt(5)
	v_fma_f32 v24, -v33, v38, v24
	global_store_dword v[6:7], v21, off
	v_mul_f32_e32 v21, v30, v37
	global_store_dword v[14:15], v24, off
	s_waitcnt vmcnt(6)
	v_mul_f32_e32 v14, v37, v34
	v_fma_f32 v21, -v31, v38, v21
	s_waitcnt vmcnt(5)
	v_fma_f32 v14, -v35, v38, v14
	v_div_scale_f32 v15, s[0:1], v21, v21, v14
	v_rcp_f32_e32 v24, v15
	v_mul_f32_e32 v25, v38, v34
	v_fmac_f32_e32 v25, v35, v37
	global_store_dword v[4:5], v25, off
	v_fma_f32 v25, -v15, v24, 1.0
	v_fmac_f32_e32 v24, v25, v24
	v_div_scale_f32 v25, vcc, v14, v21, v14
	v_mul_f32_e32 v30, v25, v24
	v_fma_f32 v31, -v15, v30, v25
	v_fmac_f32_e32 v30, v31, v24
	v_fma_f32 v15, -v15, v30, v25
	v_div_fmas_f32 v15, v15, v24, v30
	v_div_fixup_f32 v30, v15, v21, v14
	global_store_dword v[2:3], v30, off
	global_load_dword v31, v[4:5], off
	global_load_dword v34, v[16:17], off
	v_add_u32_e32 v14, s5, v1
	global_store_dword v[12:13], v21, off
	global_load_dword v35, v[6:7], off
	v_add_u32_e32 v6, s17, v20
	v_ashrrev_i32_e32 v7, 31, v6
	v_lshlrev_b64 v[12:13], 2, v[6:7]
	v_add_co_u32_e32 v12, vcc, s20, v12
	v_mul_f32_e32 v32, v32, v38
	v_addc_co_u32_e32 v13, vcc, v36, v13, vcc
	v_ashrrev_i32_e32 v15, 31, v14
	v_fmac_f32_e32 v32, v33, v37
	global_load_dword v41, v[12:13], off
	v_lshlrev_b64 v[14:15], 2, v[14:15]
	v_add_co_u32_e32 v16, vcc, s2, v14
	v_addc_co_u32_e32 v17, vcc, v29, v15, vcc
	v_add_co_u32_e32 v20, vcc, s12, v14
	v_addc_co_u32_e32 v21, vcc, v27, v15, vcc
	;; [unrolled: 2-line block ×3, first 2 shown]
	s_sub_i32 s5, s5, s18
	s_cmp_lt_i32 s16, 5
	s_waitcnt vmcnt(10)
	v_mul_f32_e32 v7, v37, v40
	v_fma_f32 v7, -v39, v38, v7
	global_store_dword v[18:19], v32, off
	global_store_dword v[10:11], v7, off
	global_load_dword v32, v[20:21], off
	s_waitcnt vmcnt(6)
	v_fma_f32 v7, -v30, v34, v31
	global_load_dword v24, v[24:25], off
	s_waitcnt vmcnt(5)
	v_div_scale_f32 v10, s[0:1], v35, v35, v7
	v_rcp_f32_e32 v11, v10
	v_div_scale_f32 v18, vcc, v7, v35, v7
	v_fma_f32 v19, -v10, v11, 1.0
	v_fmac_f32_e32 v11, v19, v11
	v_mul_f32_e32 v19, v18, v11
	v_fma_f32 v20, -v10, v19, v18
	v_fmac_f32_e32 v19, v20, v11
	v_fma_f32 v10, -v10, v19, v18
	v_div_fmas_f32 v10, v10, v11, v19
	v_div_fixup_f32 v25, v10, v35, v7
	global_store_dword v[4:5], v25, off
	v_add_co_u32_e32 v10, vcc, s10, v14
	global_load_dword v30, v[16:17], off
	global_load_dword v31, v[2:3], off
	v_addc_co_u32_e32 v11, vcc, v26, v15, vcc
	global_load_dword v33, v[10:11], off
	v_mad_u64_u32 v[6:7], s[0:1], s17, -3, v[6:7]
	v_ashrrev_i32_e32 v7, 31, v6
	v_add_u32_e32 v10, s5, v1
	v_lshlrev_b64 v[6:7], 2, v[6:7]
	v_ashrrev_i32_e32 v11, 31, v10
	v_add_co_u32_e32 v6, vcc, s20, v6
	v_lshlrev_b64 v[10:11], 2, v[10:11]
	v_addc_co_u32_e32 v7, vcc, v36, v7, vcc
	v_add_co_u32_e32 v14, vcc, s2, v10
	v_addc_co_u32_e32 v15, vcc, v29, v11, vcc
	v_add_co_u32_e32 v18, vcc, s12, v10
	v_addc_co_u32_e32 v19, vcc, v27, v11, vcc
	v_mul_f32_e32 v27, v38, v40
	v_fmac_f32_e32 v27, v39, v37
	s_waitcnt vmcnt(8)
	v_mul_f32_e32 v1, v37, v41
	global_store_dword v[22:23], v27, off
	global_store_dword v[12:13], v1, off
	v_add_co_u32_e32 v20, vcc, s14, v10
	v_addc_co_u32_e32 v21, vcc, v28, v11, vcc
	global_load_dword v1, v[18:19], off
	global_load_dword v12, v[20:21], off
	s_waitcnt vmcnt(6)
	v_fma_f32 v13, -v25, v32, v30
	s_waitcnt vmcnt(5)
	v_fma_f32 v13, -v24, v31, v13
	global_load_dword v6, v[6:7], off
	s_waitcnt vmcnt(5)
	v_div_scale_f32 v18, s[0:1], v33, v33, v13
	v_rcp_f32_e32 v19, v18
	v_div_scale_f32 v7, vcc, v13, v33, v13
	v_fma_f32 v20, -v18, v19, 1.0
	v_fmac_f32_e32 v19, v20, v19
	v_mul_f32_e32 v20, v7, v19
	v_fma_f32 v21, -v18, v20, v7
	v_fmac_f32_e32 v20, v21, v19
	v_fma_f32 v7, -v18, v20, v7
	v_div_fmas_f32 v7, v7, v19, v20
	v_div_fixup_f32 v7, v7, v33, v13
	global_store_dword v[16:17], v7, off
	global_load_dword v13, v[4:5], off
	s_nop 0
	global_load_dword v16, v[14:15], off
	global_load_dword v17, v[2:3], off
	v_add_co_u32_e32 v2, vcc, s10, v10
	v_addc_co_u32_e32 v3, vcc, v26, v11, vcc
	global_load_dword v4, v[2:3], off
	v_mov_b32_e32 v3, s23
	v_add_co_u32_e32 v2, vcc, s22, v8
	v_addc_co_u32_e32 v3, vcc, v3, v9, vcc
	v_mul_f32_e32 v5, v38, v41
	global_store_dword v[2:3], v5, off
	s_waitcnt vmcnt(3)
	v_fma_f32 v1, -v7, v1, v16
	v_fma_f32 v1, -v12, v13, v1
	s_waitcnt vmcnt(2)
	v_fma_f32 v1, -v6, v17, v1
	s_waitcnt vmcnt(1)
	v_div_scale_f32 v6, s[0:1], v4, v4, v1
	v_rcp_f32_e32 v7, v6
	v_div_scale_f32 v2, vcc, v1, v4, v1
	v_fma_f32 v3, -v6, v7, 1.0
	v_fmac_f32_e32 v7, v3, v7
	v_mul_f32_e32 v3, v2, v7
	v_fma_f32 v5, -v6, v3, v2
	v_fmac_f32_e32 v3, v5, v7
	v_fma_f32 v2, -v6, v3, v2
	v_div_fmas_f32 v2, v2, v7, v3
	v_div_fixup_f32 v1, v2, v4, v1
	global_store_dword v[14:15], v1, off
	s_cbranch_scc1 .LBB2_7
; %bb.5:
	s_add_i32 s1, s16, -5
	s_add_i32 s0, s16, -4
	s_mul_i32 s5, s17, s1
	v_add_u32_e32 v1, s5, v0
	s_mul_i32 s5, s18, s0
	v_add_u32_e32 v2, s5, v0
	s_add_i32 s5, s16, -3
	s_mul_i32 s5, s18, s5
	v_add_u32_e32 v3, s5, v0
	s_mul_i32 s5, s18, s7
	s_mul_i32 s1, s18, s1
	v_add_u32_e32 v4, s5, v0
	v_add_u32_e32 v5, s4, v0
	;; [unrolled: 1-line block ×3, first 2 shown]
.LBB2_6:                                ; =>This Inner Loop Header: Depth=1
	v_add_u32_e32 v6, s6, v0
	v_ashrrev_i32_e32 v7, 31, v6
	v_lshlrev_b64 v[6:7], 2, v[6:7]
	v_mov_b32_e32 v26, s3
	v_add_co_u32_e32 v18, vcc, s2, v6
	v_add_u32_e32 v8, s6, v2
	v_addc_co_u32_e32 v19, vcc, v26, v7, vcc
	v_mov_b32_e32 v21, s13
	v_ashrrev_i32_e32 v9, 31, v8
	v_add_co_u32_e32 v20, vcc, s12, v6
	v_lshlrev_b64 v[8:9], 2, v[8:9]
	v_addc_co_u32_e32 v21, vcc, v21, v7, vcc
	v_add_co_u32_e32 v8, vcc, s2, v8
	v_add_u32_e32 v10, s6, v3
	v_addc_co_u32_e32 v9, vcc, v26, v9, vcc
	v_mov_b32_e32 v23, s15
	v_ashrrev_i32_e32 v11, 31, v10
	v_add_co_u32_e32 v22, vcc, s14, v6
	v_add_u32_e32 v12, s6, v1
	v_lshlrev_b64 v[10:11], 2, v[10:11]
	v_addc_co_u32_e32 v23, vcc, v23, v7, vcc
	v_ashrrev_i32_e32 v13, 31, v12
	v_add_co_u32_e32 v10, vcc, s2, v10
	v_add_u32_e32 v14, s6, v4
	v_lshlrev_b64 v[12:13], 2, v[12:13]
	v_addc_co_u32_e32 v11, vcc, v26, v11, vcc
	v_mov_b32_e32 v25, s21
	v_ashrrev_i32_e32 v15, 31, v14
	v_add_co_u32_e32 v24, vcc, s20, v12
	v_lshlrev_b64 v[14:15], 2, v[14:15]
	v_addc_co_u32_e32 v25, vcc, v25, v13, vcc
	v_add_co_u32_e32 v14, vcc, s2, v14
	v_add_u32_e32 v16, s6, v5
	v_addc_co_u32_e32 v15, vcc, v26, v15, vcc
	v_mov_b32_e32 v27, s23
	v_ashrrev_i32_e32 v17, 31, v16
	v_add_co_u32_e32 v12, vcc, s22, v12
	v_lshlrev_b64 v[16:17], 2, v[16:17]
	v_addc_co_u32_e32 v13, vcc, v27, v13, vcc
	v_add_co_u32_e32 v16, vcc, s2, v16
	v_addc_co_u32_e32 v17, vcc, v26, v17, vcc
	v_mov_b32_e32 v28, s11
	v_add_co_u32_e32 v6, vcc, s10, v6
	v_addc_co_u32_e32 v7, vcc, v28, v7, vcc
	global_load_dword v26, v[18:19], off
	global_load_dword v27, v[20:21], off
	;; [unrolled: 1-line block ×10, first 2 shown]
	s_add_i32 s0, s0, -1
	v_subrev_u32_e32 v1, s17, v1
	v_subrev_u32_e32 v2, s18, v2
	;; [unrolled: 1-line block ×6, first 2 shown]
	s_cmp_lg_u32 s0, 0
	s_waitcnt vmcnt(7)
	v_fma_f32 v6, -v27, v28, v26
	s_waitcnt vmcnt(5)
	v_fma_f32 v6, -v29, v30, v6
	;; [unrolled: 2-line block ×4, first 2 shown]
	s_waitcnt vmcnt(0)
	v_div_scale_f32 v7, s[4:5], v35, v35, v6
	v_rcp_f32_e32 v8, v7
	v_div_scale_f32 v9, vcc, v6, v35, v6
	v_fma_f32 v10, -v7, v8, 1.0
	v_fmac_f32_e32 v8, v10, v8
	v_mul_f32_e32 v10, v9, v8
	v_fma_f32 v11, -v7, v10, v9
	v_fmac_f32_e32 v10, v11, v8
	v_fma_f32 v7, -v7, v10, v9
	v_div_fmas_f32 v7, v7, v8, v10
	v_div_fixup_f32 v6, v7, v35, v6
	global_store_dword v[18:19], v6, off
	s_cbranch_scc1 .LBB2_6
.LBB2_7:
	s_endpgm
	.section	.rodata,"a",@progbits
	.p2align	6, 0x0
	.amdhsa_kernel _ZN9rocsparseL39gpsv_interleaved_batch_givens_qr_kernelILj128EfEEviiiPT0_S2_S2_S2_S2_S2_S2_S2_
		.amdhsa_group_segment_fixed_size 0
		.amdhsa_private_segment_fixed_size 0
		.amdhsa_kernarg_size 80
		.amdhsa_user_sgpr_count 6
		.amdhsa_user_sgpr_private_segment_buffer 1
		.amdhsa_user_sgpr_dispatch_ptr 0
		.amdhsa_user_sgpr_queue_ptr 0
		.amdhsa_user_sgpr_kernarg_segment_ptr 1
		.amdhsa_user_sgpr_dispatch_id 0
		.amdhsa_user_sgpr_flat_scratch_init 0
		.amdhsa_user_sgpr_kernarg_preload_length 0
		.amdhsa_user_sgpr_kernarg_preload_offset 0
		.amdhsa_user_sgpr_private_segment_size 0
		.amdhsa_uses_dynamic_stack 0
		.amdhsa_system_sgpr_private_segment_wavefront_offset 0
		.amdhsa_system_sgpr_workgroup_id_x 1
		.amdhsa_system_sgpr_workgroup_id_y 0
		.amdhsa_system_sgpr_workgroup_id_z 0
		.amdhsa_system_sgpr_workgroup_info 0
		.amdhsa_system_vgpr_workitem_id 0
		.amdhsa_next_free_vgpr 60
		.amdhsa_next_free_sgpr 25
		.amdhsa_accum_offset 60
		.amdhsa_reserve_vcc 1
		.amdhsa_reserve_flat_scratch 0
		.amdhsa_float_round_mode_32 0
		.amdhsa_float_round_mode_16_64 0
		.amdhsa_float_denorm_mode_32 3
		.amdhsa_float_denorm_mode_16_64 3
		.amdhsa_dx10_clamp 1
		.amdhsa_ieee_mode 1
		.amdhsa_fp16_overflow 0
		.amdhsa_tg_split 0
		.amdhsa_exception_fp_ieee_invalid_op 0
		.amdhsa_exception_fp_denorm_src 0
		.amdhsa_exception_fp_ieee_div_zero 0
		.amdhsa_exception_fp_ieee_overflow 0
		.amdhsa_exception_fp_ieee_underflow 0
		.amdhsa_exception_fp_ieee_inexact 0
		.amdhsa_exception_int_div_zero 0
	.end_amdhsa_kernel
	.section	.text._ZN9rocsparseL39gpsv_interleaved_batch_givens_qr_kernelILj128EfEEviiiPT0_S2_S2_S2_S2_S2_S2_S2_,"axG",@progbits,_ZN9rocsparseL39gpsv_interleaved_batch_givens_qr_kernelILj128EfEEviiiPT0_S2_S2_S2_S2_S2_S2_S2_,comdat
.Lfunc_end2:
	.size	_ZN9rocsparseL39gpsv_interleaved_batch_givens_qr_kernelILj128EfEEviiiPT0_S2_S2_S2_S2_S2_S2_S2_, .Lfunc_end2-_ZN9rocsparseL39gpsv_interleaved_batch_givens_qr_kernelILj128EfEEviiiPT0_S2_S2_S2_S2_S2_S2_S2_
                                        ; -- End function
	.section	.AMDGPU.csdata,"",@progbits
; Kernel info:
; codeLenInByte = 3416
; NumSgprs: 29
; NumVgprs: 60
; NumAgprs: 0
; TotalNumVgprs: 60
; ScratchSize: 0
; MemoryBound: 0
; FloatMode: 240
; IeeeMode: 1
; LDSByteSize: 0 bytes/workgroup (compile time only)
; SGPRBlocks: 3
; VGPRBlocks: 7
; NumSGPRsForWavesPerEU: 29
; NumVGPRsForWavesPerEU: 60
; AccumOffset: 60
; Occupancy: 8
; WaveLimiterHint : 0
; COMPUTE_PGM_RSRC2:SCRATCH_EN: 0
; COMPUTE_PGM_RSRC2:USER_SGPR: 6
; COMPUTE_PGM_RSRC2:TRAP_HANDLER: 0
; COMPUTE_PGM_RSRC2:TGID_X_EN: 1
; COMPUTE_PGM_RSRC2:TGID_Y_EN: 0
; COMPUTE_PGM_RSRC2:TGID_Z_EN: 0
; COMPUTE_PGM_RSRC2:TIDIG_COMP_CNT: 0
; COMPUTE_PGM_RSRC3_GFX90A:ACCUM_OFFSET: 14
; COMPUTE_PGM_RSRC3_GFX90A:TG_SPLIT: 0
	.section	.text._ZN9rocsparseL19gpsv_strided_gatherILj256EdEEviiiPKT0_PS1_,"axG",@progbits,_ZN9rocsparseL19gpsv_strided_gatherILj256EdEEviiiPKT0_PS1_,comdat
	.globl	_ZN9rocsparseL19gpsv_strided_gatherILj256EdEEviiiPKT0_PS1_ ; -- Begin function _ZN9rocsparseL19gpsv_strided_gatherILj256EdEEviiiPKT0_PS1_
	.p2align	8
	.type	_ZN9rocsparseL19gpsv_strided_gatherILj256EdEEviiiPKT0_PS1_,@function
_ZN9rocsparseL19gpsv_strided_gatherILj256EdEEviiiPKT0_PS1_: ; @_ZN9rocsparseL19gpsv_strided_gatherILj256EdEEviiiPKT0_PS1_
; %bb.0:
	s_load_dword s7, s[4:5], 0x2c
	s_load_dwordx4 s[0:3], s[4:5], 0x0
	s_waitcnt lgkmcnt(0)
	s_and_b32 s3, s7, 0xffff
	s_mul_i32 s6, s6, s3
	s_cmp_gt_i32 s0, 0
	v_add_u32_e32 v0, s6, v0
	v_cmp_gt_i32_e32 vcc, s1, v0
	s_cselect_b64 s[6:7], -1, 0
	s_and_b64 s[6:7], vcc, s[6:7]
	s_and_saveexec_b64 s[8:9], s[6:7]
	s_cbranch_execz .LBB3_3
; %bb.1:
	s_load_dwordx4 s[4:7], s[4:5], 0x10
	v_mov_b32_e32 v2, v0
	s_waitcnt lgkmcnt(0)
	v_mov_b32_e32 v4, s5
	v_mov_b32_e32 v5, s7
.LBB3_2:                                ; =>This Inner Loop Header: Depth=1
	v_ashrrev_i32_e32 v1, 31, v0
	v_lshlrev_b64 v[6:7], 3, v[0:1]
	v_add_co_u32_e32 v6, vcc, s4, v6
	v_addc_co_u32_e32 v7, vcc, v4, v7, vcc
	global_load_dwordx2 v[6:7], v[6:7], off
	v_ashrrev_i32_e32 v3, 31, v2
	v_lshlrev_b64 v[8:9], 3, v[2:3]
	s_add_i32 s0, s0, -1
	v_add_co_u32_e32 v8, vcc, s6, v8
	v_add_u32_e32 v2, s1, v2
	s_cmp_lg_u32 s0, 0
	v_addc_co_u32_e32 v9, vcc, v5, v9, vcc
	v_add_u32_e32 v0, s2, v0
	s_waitcnt vmcnt(0)
	global_store_dwordx2 v[8:9], v[6:7], off
	s_cbranch_scc1 .LBB3_2
.LBB3_3:
	s_endpgm
	.section	.rodata,"a",@progbits
	.p2align	6, 0x0
	.amdhsa_kernel _ZN9rocsparseL19gpsv_strided_gatherILj256EdEEviiiPKT0_PS1_
		.amdhsa_group_segment_fixed_size 0
		.amdhsa_private_segment_fixed_size 0
		.amdhsa_kernarg_size 288
		.amdhsa_user_sgpr_count 6
		.amdhsa_user_sgpr_private_segment_buffer 1
		.amdhsa_user_sgpr_dispatch_ptr 0
		.amdhsa_user_sgpr_queue_ptr 0
		.amdhsa_user_sgpr_kernarg_segment_ptr 1
		.amdhsa_user_sgpr_dispatch_id 0
		.amdhsa_user_sgpr_flat_scratch_init 0
		.amdhsa_user_sgpr_kernarg_preload_length 0
		.amdhsa_user_sgpr_kernarg_preload_offset 0
		.amdhsa_user_sgpr_private_segment_size 0
		.amdhsa_uses_dynamic_stack 0
		.amdhsa_system_sgpr_private_segment_wavefront_offset 0
		.amdhsa_system_sgpr_workgroup_id_x 1
		.amdhsa_system_sgpr_workgroup_id_y 0
		.amdhsa_system_sgpr_workgroup_id_z 0
		.amdhsa_system_sgpr_workgroup_info 0
		.amdhsa_system_vgpr_workitem_id 0
		.amdhsa_next_free_vgpr 10
		.amdhsa_next_free_sgpr 10
		.amdhsa_accum_offset 12
		.amdhsa_reserve_vcc 1
		.amdhsa_reserve_flat_scratch 0
		.amdhsa_float_round_mode_32 0
		.amdhsa_float_round_mode_16_64 0
		.amdhsa_float_denorm_mode_32 3
		.amdhsa_float_denorm_mode_16_64 3
		.amdhsa_dx10_clamp 1
		.amdhsa_ieee_mode 1
		.amdhsa_fp16_overflow 0
		.amdhsa_tg_split 0
		.amdhsa_exception_fp_ieee_invalid_op 0
		.amdhsa_exception_fp_denorm_src 0
		.amdhsa_exception_fp_ieee_div_zero 0
		.amdhsa_exception_fp_ieee_overflow 0
		.amdhsa_exception_fp_ieee_underflow 0
		.amdhsa_exception_fp_ieee_inexact 0
		.amdhsa_exception_int_div_zero 0
	.end_amdhsa_kernel
	.section	.text._ZN9rocsparseL19gpsv_strided_gatherILj256EdEEviiiPKT0_PS1_,"axG",@progbits,_ZN9rocsparseL19gpsv_strided_gatherILj256EdEEviiiPKT0_PS1_,comdat
.Lfunc_end3:
	.size	_ZN9rocsparseL19gpsv_strided_gatherILj256EdEEviiiPKT0_PS1_, .Lfunc_end3-_ZN9rocsparseL19gpsv_strided_gatherILj256EdEEviiiPKT0_PS1_
                                        ; -- End function
	.section	.AMDGPU.csdata,"",@progbits
; Kernel info:
; codeLenInByte = 168
; NumSgprs: 14
; NumVgprs: 10
; NumAgprs: 0
; TotalNumVgprs: 10
; ScratchSize: 0
; MemoryBound: 0
; FloatMode: 240
; IeeeMode: 1
; LDSByteSize: 0 bytes/workgroup (compile time only)
; SGPRBlocks: 1
; VGPRBlocks: 1
; NumSGPRsForWavesPerEU: 14
; NumVGPRsForWavesPerEU: 10
; AccumOffset: 12
; Occupancy: 8
; WaveLimiterHint : 0
; COMPUTE_PGM_RSRC2:SCRATCH_EN: 0
; COMPUTE_PGM_RSRC2:USER_SGPR: 6
; COMPUTE_PGM_RSRC2:TRAP_HANDLER: 0
; COMPUTE_PGM_RSRC2:TGID_X_EN: 1
; COMPUTE_PGM_RSRC2:TGID_Y_EN: 0
; COMPUTE_PGM_RSRC2:TGID_Z_EN: 0
; COMPUTE_PGM_RSRC2:TIDIG_COMP_CNT: 0
; COMPUTE_PGM_RSRC3_GFX90A:ACCUM_OFFSET: 2
; COMPUTE_PGM_RSRC3_GFX90A:TG_SPLIT: 0
	.section	.text._ZN9rocsparseL44gpsv_interleaved_batch_householder_qr_kernelILj256EdEEviiiPT0_S2_S2_S2_S2_S2_S2_S2_S2_,"axG",@progbits,_ZN9rocsparseL44gpsv_interleaved_batch_householder_qr_kernelILj256EdEEviiiPT0_S2_S2_S2_S2_S2_S2_S2_S2_,comdat
	.globl	_ZN9rocsparseL44gpsv_interleaved_batch_householder_qr_kernelILj256EdEEviiiPT0_S2_S2_S2_S2_S2_S2_S2_S2_ ; -- Begin function _ZN9rocsparseL44gpsv_interleaved_batch_householder_qr_kernelILj256EdEEviiiPT0_S2_S2_S2_S2_S2_S2_S2_S2_
	.p2align	8
	.type	_ZN9rocsparseL44gpsv_interleaved_batch_householder_qr_kernelILj256EdEEviiiPT0_S2_S2_S2_S2_S2_S2_S2_S2_,@function
_ZN9rocsparseL44gpsv_interleaved_batch_householder_qr_kernelILj256EdEEviiiPT0_S2_S2_S2_S2_S2_S2_S2_S2_: ; @_ZN9rocsparseL44gpsv_interleaved_batch_householder_qr_kernelILj256EdEEviiiPT0_S2_S2_S2_S2_S2_S2_S2_S2_
; %bb.0:
	s_load_dword s0, s[4:5], 0x64
	s_load_dwordx4 s[8:11], s[4:5], 0x0
	s_waitcnt lgkmcnt(0)
	s_and_b32 s0, s0, 0xffff
	s_mul_i32 s11, s6, s0
	v_add_u32_e32 v1, s11, v0
	v_cmp_gt_i32_e32 vcc, s9, v1
	s_and_saveexec_b64 s[0:1], vcc
	s_cbranch_execz .LBB4_22
; %bb.1:
	s_load_dwordx2 s[2:3], s[4:5], 0x50
	s_load_dwordx4 s[12:15], s[4:5], 0x40
	s_load_dwordx4 s[16:19], s[4:5], 0x20
	s_load_dwordx2 s[6:7], s[4:5], 0x30
	s_add_i32 s30, s8, -1
	s_cmp_lt_i32 s8, 2
	s_cbranch_scc1 .LBB4_9
; %bb.2:
	s_load_dwordx4 s[20:23], s[4:5], 0x10
	s_mov_b32 s24, 0
	v_add_u32_e32 v1, s9, v0
	v_lshl_add_u32 v52, s9, 1, v0
	v_add_u32_e32 v53, s10, v0
	v_lshl_add_u32 v54, s10, 1, v0
	s_waitcnt lgkmcnt(0)
	v_mov_b32_e32 v55, s23
	v_mov_b32_e32 v56, s17
	;; [unrolled: 1-line block ×5, first 2 shown]
	s_brev_b32 s25, 8
	v_mov_b32_e32 v60, 0x260
	v_mov_b32_e32 v61, 0xffffff80
	;; [unrolled: 1-line block ×3, first 2 shown]
	s_mov_b32 s31, s30
	v_mov_b32_e32 v63, v0
	s_branch .LBB4_4
.LBB4_3:                                ;   in Loop: Header=BB4_4 Depth=1
	s_or_b64 exec, exec, s[28:29]
	s_add_i32 s31, s31, -1
	v_add_u32_e32 v1, s9, v1
	v_add_u32_e32 v52, s9, v52
	;; [unrolled: 1-line block ×5, first 2 shown]
	s_cmp_eq_u32 s31, 0
	v_add_u32_e32 v62, s10, v62
	s_cbranch_scc1 .LBB4_9
.LBB4_4:                                ; =>This Inner Loop Header: Depth=1
	v_add_u32_e32 v2, s11, v53
	v_ashrrev_i32_e32 v3, 31, v2
	v_lshlrev_b64 v[2:3], 3, v[2:3]
	v_add_co_u32_e32 v32, vcc, s22, v2
	v_addc_co_u32_e32 v33, vcc, v55, v3, vcc
	v_add_co_u32_e32 v4, vcc, s16, v2
	v_addc_co_u32_e32 v5, vcc, v56, v3, vcc
	v_add_co_u32_e32 v12, vcc, s18, v2
	v_add_u32_e32 v6, s11, v1
	v_addc_co_u32_e32 v13, vcc, v57, v3, vcc
	v_add_co_u32_e32 v20, vcc, s6, v2
	v_ashrrev_i32_e32 v7, 31, v6
	v_addc_co_u32_e32 v21, vcc, v58, v3, vcc
	v_lshlrev_b64 v[38:39], 3, v[6:7]
	v_add_co_u32_e32 v6, vcc, s2, v38
	v_addc_co_u32_e32 v7, vcc, v59, v39, vcc
	global_load_dwordx2 v[34:35], v[32:33], off
	global_load_dwordx2 v[16:17], v[4:5], off
	;; [unrolled: 1-line block ×5, first 2 shown]
	s_cmp_lg_u32 s31, 1
	s_waitcnt vmcnt(5)
	v_pk_mov_b32 v[10:11], 0, 0
	s_cselect_b64 s[26:27], -1, 0
	s_cmp_eq_u32 s31, 1
	v_add_u32_e32 v8, s11, v54
	v_add_u32_e32 v2, s11, v52
	v_pk_mov_b32 v[14:15], v[10:11], v[10:11] op_sel:[0,1]
	v_pk_mov_b32 v[22:23], v[10:11], v[10:11] op_sel:[0,1]
	;; [unrolled: 1-line block ×5, first 2 shown]
	s_cbranch_scc1 .LBB4_6
; %bb.5:                                ;   in Loop: Header=BB4_4 Depth=1
	v_ashrrev_i32_e32 v9, 31, v8
	v_lshlrev_b64 v[10:11], 3, v[8:9]
	v_mov_b32_e32 v3, s21
	v_add_co_u32_e32 v14, vcc, s20, v10
	v_addc_co_u32_e32 v15, vcc, v3, v11, vcc
	global_load_dwordx2 v[36:37], v[14:15], off
	v_add_co_u32_e32 v14, vcc, s22, v10
	v_addc_co_u32_e32 v15, vcc, v55, v11, vcc
	global_load_dwordx2 v[30:31], v[14:15], off
	;; [unrolled: 3-line block ×3, first 2 shown]
	v_add_co_u32_e32 v14, vcc, s18, v10
	v_addc_co_u32_e32 v15, vcc, v57, v11, vcc
	v_add_co_u32_e32 v10, vcc, s6, v10
	v_addc_co_u32_e32 v11, vcc, v58, v11, vcc
	v_ashrrev_i32_e32 v3, 31, v2
	global_load_dwordx2 v[22:23], v[14:15], off
	s_nop 0
	global_load_dwordx2 v[14:15], v[10:11], off
	v_lshlrev_b64 v[10:11], 3, v[2:3]
	v_add_co_u32_e32 v10, vcc, s2, v10
	v_addc_co_u32_e32 v11, vcc, v59, v11, vcc
	global_load_dwordx2 v[10:11], v[10:11], off
.LBB4_6:                                ;   in Loop: Header=BB4_4 Depth=1
	s_waitcnt vmcnt(5)
	v_mul_f64 v[50:51], v[36:37], v[36:37]
	s_waitcnt vmcnt(4)
	v_fmac_f64_e32 v[50:51], v[34:35], v[34:35]
	v_cmp_neq_f64_e32 vcc, 0, v[50:51]
	s_and_saveexec_b64 s[28:29], vcc
	s_cbranch_execz .LBB4_3
; %bb.7:                                ;   in Loop: Header=BB4_4 Depth=1
	v_add_u32_e32 v40, s11, v62
	v_ashrrev_i32_e32 v41, 31, v40
	v_lshlrev_b64 v[46:47], 3, v[40:41]
	v_mov_b32_e32 v3, s17
	v_add_co_u32_e32 v40, vcc, s16, v46
	v_addc_co_u32_e32 v41, vcc, v3, v47, vcc
	global_load_dwordx2 v[42:43], v[40:41], off
	s_waitcnt vmcnt(0)
	v_fma_f64 v[44:45], v[42:43], v[42:43], v[50:51]
	v_cmp_gt_f64_e32 vcc, s[24:25], v[44:45]
	v_cndmask_b32_e64 v3, 0, 1, vcc
	v_lshlrev_b32_e32 v3, 8, v3
	v_ldexp_f64 v[44:45], v[44:45], v3
	v_rsq_f64_e32 v[48:49], v[44:45]
	v_cndmask_b32_e32 v3, 0, v61, vcc
	v_cmp_class_f64_e32 vcc, v[44:45], v60
	v_cmp_lt_f64_e64 s[0:1], 0, v[42:43]
	v_mul_f64 v[64:65], v[44:45], v[48:49]
	v_mul_f64 v[48:49], v[48:49], 0.5
	v_fma_f64 v[66:67], -v[48:49], v[64:65], 0.5
	v_fmac_f64_e32 v[64:65], v[64:65], v[66:67]
	v_fmac_f64_e32 v[48:49], v[48:49], v[66:67]
	v_fma_f64 v[66:67], -v[64:65], v[64:65], v[44:45]
	v_fmac_f64_e32 v[64:65], v[66:67], v[48:49]
	v_fma_f64 v[66:67], -v[64:65], v[64:65], v[44:45]
	v_fmac_f64_e32 v[64:65], v[66:67], v[48:49]
	v_ldexp_f64 v[48:49], v[64:65], v3
	v_cndmask_b32_e32 v3, v49, v45, vcc
	v_xor_b32_e32 v9, 0x80000000, v3
	v_cndmask_b32_e32 v44, v48, v44, vcc
	v_cndmask_b32_e64 v45, v9, v3, s[0:1]
	v_add_f64 v[44:45], v[42:43], v[44:45]
	v_div_scale_f64 v[48:49], s[0:1], v[44:45], v[44:45], v[34:35]
	v_rcp_f64_e32 v[66:67], v[48:49]
	v_div_scale_f64 v[64:65], vcc, v[34:35], v[44:45], v[34:35]
	v_div_scale_f64 v[68:69], s[0:1], v[44:45], v[44:45], v[36:37]
	v_fma_f64 v[72:73], -v[48:49], v[66:67], 1.0
	v_fmac_f64_e32 v[66:67], v[66:67], v[72:73]
	v_fma_f64 v[72:73], -v[48:49], v[66:67], 1.0
	v_fmac_f64_e32 v[66:67], v[66:67], v[72:73]
	v_mul_f64 v[72:73], v[64:65], v[66:67]
	v_fma_f64 v[48:49], -v[48:49], v[72:73], v[64:65]
	v_rcp_f64_e32 v[64:65], v[68:69]
	v_div_fmas_f64 v[48:49], v[48:49], v[66:67], v[72:73]
	v_div_scale_f64 v[70:71], s[0:1], v[36:37], v[44:45], v[36:37]
	v_fma_f64 v[72:73], -v[68:69], v[64:65], 1.0
	v_fmac_f64_e32 v[64:65], v[64:65], v[72:73]
	v_fma_f64 v[72:73], -v[68:69], v[64:65], 1.0
	v_mul_f64 v[66:67], v[44:45], v[44:45]
	v_fmac_f64_e32 v[64:65], v[64:65], v[72:73]
	v_fmac_f64_e32 v[50:51], v[44:45], v[44:45]
	v_add_f64 v[66:67], v[66:67], v[66:67]
	v_mul_f64 v[72:73], v[70:71], v[64:65]
	v_fma_f64 v[68:69], -v[68:69], v[72:73], v[70:71]
	v_div_scale_f64 v[70:71], s[34:35], v[50:51], v[50:51], v[66:67]
	s_mov_b64 vcc, s[0:1]
	v_div_fmas_f64 v[64:65], v[68:69], v[64:65], v[72:73]
	v_rcp_f64_e32 v[68:69], v[70:71]
	v_mov_b32_e32 v3, s19
	v_mov_b32_e32 v9, s7
	v_div_fixup_f64 v[48:49], v[48:49], v[44:45], v[34:35]
	v_fma_f64 v[72:73], -v[70:71], v[68:69], 1.0
	v_fmac_f64_e32 v[68:69], v[68:69], v[72:73]
	v_fma_f64 v[72:73], -v[70:71], v[68:69], 1.0
	v_fmac_f64_e32 v[68:69], v[68:69], v[72:73]
	v_div_scale_f64 v[72:73], vcc, v[66:67], v[50:51], v[66:67]
	v_mul_f64 v[74:75], v[72:73], v[68:69]
	v_fma_f64 v[70:71], -v[70:71], v[74:75], v[72:73]
	v_mov_b32_e32 v72, s13
	s_nop 0
	v_div_fmas_f64 v[68:69], v[70:71], v[68:69], v[74:75]
	v_div_fixup_f64 v[50:51], v[68:69], v[50:51], v[66:67]
	v_add_co_u32_e32 v66, vcc, s12, v38
	v_addc_co_u32_e32 v67, vcc, v72, v39, vcc
	v_add_co_u32_e32 v68, vcc, s18, v46
	v_add_u32_e32 v70, s11, v63
	v_addc_co_u32_e32 v69, vcc, v3, v47, vcc
	v_ashrrev_i32_e32 v71, 31, v70
	v_add_co_u32_e32 v46, vcc, s6, v46
	v_lshlrev_b64 v[38:39], 3, v[70:71]
	v_addc_co_u32_e32 v47, vcc, v9, v47, vcc
	v_add_co_u32_e32 v70, vcc, s12, v38
	v_addc_co_u32_e32 v71, vcc, v72, v39, vcc
	v_mov_b32_e32 v73, s15
	v_add_co_u32_e32 v72, vcc, s14, v38
	v_addc_co_u32_e32 v73, vcc, v73, v39, vcc
	v_mov_b32_e32 v3, s3
	v_add_co_u32_e32 v74, vcc, s2, v38
	v_addc_co_u32_e32 v75, vcc, v3, v39, vcc
	v_div_fixup_f64 v[38:39], v[64:65], v[44:45], v[36:37]
	global_load_dwordx2 v[44:45], v[68:69], off
	v_fma_f64 v[34:35], v[48:49], v[34:35], v[42:43]
	v_fmac_f64_e32 v[34:35], v[38:39], v[36:37]
	global_load_dwordx2 v[36:37], v[46:47], off
	v_fma_f64 v[34:35], -v[34:35], v[50:51], v[42:43]
	global_load_dwordx2 v[42:43], v[70:71], off
	s_waitcnt vmcnt(1)
	v_fma_f64 v[64:65], v[48:49], v[24:25], v[36:37]
	global_store_dwordx2 v[40:41], v[34:35], off
	v_fma_f64 v[34:35], v[48:49], v[16:17], v[44:45]
	v_fmac_f64_e32 v[34:35], v[38:39], v[30:31]
	v_fma_f64 v[40:41], -v[34:35], v[50:51], v[44:45]
	global_store_dwordx2 v[68:69], v[40:41], off
	global_load_dwordx2 v[40:41], v[66:67], off
	s_nop 0
	global_load_dwordx2 v[44:45], v[72:73], off
	v_fmac_f64_e32 v[64:65], v[38:39], v[26:27]
	s_waitcnt vmcnt(4)
	v_fma_f64 v[68:69], v[48:49], v[28:29], v[42:43]
	v_fma_f64 v[36:37], -v[64:65], v[50:51], v[36:37]
	v_fmac_f64_e32 v[68:69], v[38:39], v[22:23]
	global_store_dwordx2 v[46:47], v[36:37], off
	global_load_dwordx2 v[46:47], v[74:75], off
	v_fma_f64 v[36:37], -v[68:69], v[50:51], v[42:43]
	global_store_dwordx2 v[70:71], v[36:37], off
	global_load_dwordx2 v[42:43], v[66:67], off
	v_fma_f64 v[70:71], v[48:49], v[48:49], 1.0
	v_fmac_f64_e32 v[70:71], v[38:39], v[38:39]
	global_store_dwordx2 v[32:33], v[48:49], off
	v_mul_f64 v[36:37], v[64:65], v[50:51]
	v_fma_f64 v[24:25], -v[36:37], v[48:49], v[24:25]
	s_waitcnt vmcnt(5)
	v_fma_f64 v[76:77], v[48:49], v[40:41], v[44:45]
	v_fmac_f64_e32 v[76:77], v[38:39], v[14:15]
	v_fma_f64 v[32:33], -v[76:77], v[50:51], v[44:45]
	v_div_scale_f64 v[44:45], s[0:1], v[70:71], v[70:71], 2.0
	global_store_dwordx2 v[72:73], v[32:33], off
	v_mul_f64 v[40:41], v[34:35], v[50:51]
	v_mul_f64 v[34:35], v[68:69], v[50:51]
	;; [unrolled: 1-line block ×3, first 2 shown]
	v_rcp_f64_e32 v[50:51], v[44:45]
	v_fma_f64 v[16:17], -v[40:41], v[48:49], v[16:17]
	v_fma_f64 v[28:29], -v[34:35], v[48:49], v[28:29]
	global_store_dwordx2 v[4:5], v[16:17], off
	global_store_dwordx2 v[12:13], v[24:25], off
	;; [unrolled: 1-line block ×3, first 2 shown]
	v_fma_f64 v[4:5], -v[44:45], v[50:51], 1.0
	v_fmac_f64_e32 v[50:51], v[50:51], v[4:5]
	v_fma_f64 v[4:5], -v[44:45], v[50:51], 1.0
	v_div_scale_f64 v[72:73], vcc, 2.0, v[70:71], 2.0
	v_fmac_f64_e32 v[50:51], v[50:51], v[4:5]
	v_mul_f64 v[4:5], v[72:73], v[50:51]
	v_fma_f64 v[12:13], -v[44:45], v[4:5], v[72:73]
	s_waitcnt vmcnt(7)
	v_fma_f64 v[78:79], v[48:49], v[18:19], v[46:47]
	v_div_fmas_f64 v[4:5], v[12:13], v[50:51], v[4:5]
	v_fmac_f64_e32 v[78:79], v[38:39], v[10:11]
	v_div_fixup_f64 v[12:13], v[4:5], v[70:71], 2.0
	s_andn2_b64 vcc, exec, s[26:27]
	v_mul_f64 v[4:5], v[78:79], v[12:13]
	v_fma_f64 v[12:13], -v[78:79], v[12:13], v[46:47]
	s_waitcnt vmcnt(5)
	v_fma_f64 v[16:17], -v[32:33], v[48:49], v[42:43]
	global_store_dwordx2 v[74:75], v[12:13], off
	v_fma_f64 v[12:13], -v[48:49], v[4:5], v[18:19]
	global_store_dwordx2 v[66:67], v[16:17], off
	global_store_dwordx2 v[6:7], v[12:13], off
	s_cbranch_vccnz .LBB4_3
; %bb.8:                                ;   in Loop: Header=BB4_4 Depth=1
	v_ashrrev_i32_e32 v9, 31, v8
	v_lshlrev_b64 v[6:7], 3, v[8:9]
	v_mov_b32_e32 v3, s21
	v_add_co_u32_e32 v8, vcc, s20, v6
	v_addc_co_u32_e32 v9, vcc, v3, v7, vcc
	v_mov_b32_e32 v3, s23
	v_add_co_u32_e32 v12, vcc, s22, v6
	global_store_dwordx2 v[8:9], v[38:39], off
	v_fma_f64 v[8:9], -v[40:41], v[38:39], v[30:31]
	v_addc_co_u32_e32 v13, vcc, v3, v7, vcc
	global_store_dwordx2 v[12:13], v[8:9], off
	v_mov_b32_e32 v3, s17
	v_add_co_u32_e32 v12, vcc, s16, v6
	v_fma_f64 v[8:9], -v[36:37], v[38:39], v[26:27]
	v_addc_co_u32_e32 v13, vcc, v3, v7, vcc
	global_store_dwordx2 v[12:13], v[8:9], off
	v_mov_b32_e32 v3, s19
	v_add_co_u32_e32 v12, vcc, s18, v6
	v_addc_co_u32_e32 v13, vcc, v3, v7, vcc
	v_mov_b32_e32 v3, s7
	v_add_co_u32_e32 v6, vcc, s6, v6
	v_fma_f64 v[8:9], -v[34:35], v[38:39], v[22:23]
	v_addc_co_u32_e32 v7, vcc, v3, v7, vcc
	v_ashrrev_i32_e32 v3, 31, v2
	global_store_dwordx2 v[12:13], v[8:9], off
	v_fma_f64 v[8:9], -v[32:33], v[38:39], v[14:15]
	v_lshlrev_b64 v[2:3], 3, v[2:3]
	global_store_dwordx2 v[6:7], v[8:9], off
	v_mov_b32_e32 v6, s3
	v_add_co_u32_e32 v2, vcc, s2, v2
	v_fma_f64 v[4:5], -v[38:39], v[4:5], v[10:11]
	v_addc_co_u32_e32 v3, vcc, v6, v3, vcc
	global_store_dwordx2 v[2:3], v[4:5], off
	s_branch .LBB4_3
.LBB4_9:
	s_cmp_lt_i32 s8, 1
	s_cbranch_scc1 .LBB4_22
; %bb.10:
	s_load_dwordx2 s[0:1], s[4:5], 0x38
	s_mul_i32 s4, s9, s30
	v_add_u32_e32 v6, s4, v0
	s_add_i32 s4, s8, 3
	s_mul_i32 s4, s10, s4
	v_add_u32_e32 v7, s4, v0
	s_add_i32 s4, s8, 2
	;; [unrolled: 3-line block ×3, first 2 shown]
	s_mul_i32 s4, s10, s4
	v_add_u32_e32 v9, s4, v0
	s_mul_i32 s4, s10, s8
	s_waitcnt vmcnt(0)
	v_add_u32_e32 v10, s4, v0
	s_mul_i32 s4, s10, s30
	v_add_u32_e32 v11, s4, v0
	s_mov_b32 s20, s8
	s_branch .LBB4_12
.LBB4_11:                               ;   in Loop: Header=BB4_12 Depth=1
	s_waitcnt lgkmcnt(0)
	v_mov_b32_e32 v12, s3
	v_add_co_u32_e32 v4, vcc, s2, v4
	v_addc_co_u32_e32 v5, vcc, v12, v5, vcc
	v_lshlrev_b64 v[2:3], 3, v[2:3]
	v_mov_b32_e32 v13, s17
	v_add_co_u32_e32 v12, vcc, s16, v2
	global_load_dwordx2 v[4:5], v[4:5], off
	v_addc_co_u32_e32 v13, vcc, v13, v3, vcc
	global_load_dwordx2 v[12:13], v[12:13], off
	v_mov_b32_e32 v14, s1
	v_add_co_u32_e32 v2, vcc, s0, v2
	v_addc_co_u32_e32 v3, vcc, v14, v3, vcc
	s_add_i32 s20, s20, -1
	v_subrev_u32_e32 v6, s9, v6
	v_subrev_u32_e32 v7, s10, v7
	;; [unrolled: 1-line block ×5, first 2 shown]
	s_cmp_gt_i32 s20, 0
	v_subrev_u32_e32 v11, s10, v11
	s_waitcnt vmcnt(1)
	v_add_f64 v[0:1], v[4:5], -v[0:1]
	s_waitcnt vmcnt(0)
	v_div_scale_f64 v[4:5], s[4:5], v[12:13], v[12:13], v[0:1]
	v_rcp_f64_e32 v[14:15], v[4:5]
	v_div_scale_f64 v[16:17], vcc, v[0:1], v[12:13], v[0:1]
	v_fma_f64 v[18:19], -v[4:5], v[14:15], 1.0
	v_fmac_f64_e32 v[14:15], v[14:15], v[18:19]
	v_fma_f64 v[18:19], -v[4:5], v[14:15], 1.0
	v_fmac_f64_e32 v[14:15], v[14:15], v[18:19]
	v_mul_f64 v[18:19], v[16:17], v[14:15]
	v_fma_f64 v[4:5], -v[4:5], v[18:19], v[16:17]
	v_div_fmas_f64 v[4:5], v[4:5], v[14:15], v[18:19]
	v_div_fixup_f64 v[0:1], v[4:5], v[12:13], v[0:1]
	global_store_dwordx2 v[2:3], v[0:1], off
	s_cbranch_scc0 .LBB4_22
.LBB4_12:                               ; =>This Inner Loop Header: Depth=1
	v_add_u32_e32 v2, s11, v11
	s_cmp_ge_i32 s20, s8
	v_pk_mov_b32 v[0:1], 0, 0
	v_ashrrev_i32_e32 v3, 31, v2
	s_cbranch_scc1 .LBB4_14
; %bb.13:                               ;   in Loop: Header=BB4_12 Depth=1
	v_lshlrev_b64 v[0:1], 3, v[2:3]
	s_waitcnt lgkmcnt(0)
	v_mov_b32_e32 v4, s19
	v_add_co_u32_e32 v0, vcc, s18, v0
	v_addc_co_u32_e32 v1, vcc, v4, v1, vcc
	v_add_u32_e32 v4, s11, v10
	v_ashrrev_i32_e32 v5, 31, v4
	v_lshlrev_b64 v[4:5], 3, v[4:5]
	v_mov_b32_e32 v12, s1
	v_add_co_u32_e32 v4, vcc, s0, v4
	v_addc_co_u32_e32 v5, vcc, v12, v5, vcc
	global_load_dwordx2 v[0:1], v[0:1], off
	s_nop 0
	global_load_dwordx2 v[4:5], v[4:5], off
	s_waitcnt vmcnt(0)
	v_fma_f64 v[0:1], v[0:1], v[4:5], 0
.LBB4_14:                               ;   in Loop: Header=BB4_12 Depth=1
	s_add_i32 s4, s20, 1
	s_cmp_ge_i32 s4, s8
	s_cbranch_scc1 .LBB4_16
; %bb.15:                               ;   in Loop: Header=BB4_12 Depth=1
	v_lshlrev_b64 v[4:5], 3, v[2:3]
	s_waitcnt lgkmcnt(0)
	v_mov_b32_e32 v12, s7
	v_add_co_u32_e32 v4, vcc, s6, v4
	v_addc_co_u32_e32 v5, vcc, v12, v5, vcc
	v_add_u32_e32 v12, s11, v9
	v_ashrrev_i32_e32 v13, 31, v12
	v_lshlrev_b64 v[12:13], 3, v[12:13]
	v_mov_b32_e32 v14, s1
	v_add_co_u32_e32 v12, vcc, s0, v12
	v_addc_co_u32_e32 v13, vcc, v14, v13, vcc
	global_load_dwordx2 v[4:5], v[4:5], off
	s_nop 0
	global_load_dwordx2 v[12:13], v[12:13], off
	s_waitcnt vmcnt(0)
	v_fmac_f64_e32 v[0:1], v[4:5], v[12:13]
.LBB4_16:                               ;   in Loop: Header=BB4_12 Depth=1
	v_add_u32_e32 v4, s11, v6
	s_add_i32 s4, s20, 2
	s_cmp_lt_i32 s4, s8
	v_ashrrev_i32_e32 v5, 31, v4
	s_cbranch_scc1 .LBB4_21
; %bb.17:                               ;   in Loop: Header=BB4_12 Depth=1
	s_cbranch_execnz .LBB4_19
.LBB4_18:                               ;   in Loop: Header=BB4_12 Depth=1
	v_lshlrev_b64 v[12:13], 3, v[4:5]
	s_waitcnt lgkmcnt(0)
	v_mov_b32_e32 v14, s13
	v_add_co_u32_e32 v12, vcc, s12, v12
	v_addc_co_u32_e32 v13, vcc, v14, v13, vcc
	v_add_u32_e32 v14, s11, v8
	v_ashrrev_i32_e32 v15, 31, v14
	v_lshlrev_b64 v[14:15], 3, v[14:15]
	v_mov_b32_e32 v16, s1
	v_add_co_u32_e32 v14, vcc, s0, v14
	v_addc_co_u32_e32 v15, vcc, v16, v15, vcc
	global_load_dwordx2 v[12:13], v[12:13], off
	s_nop 0
	global_load_dwordx2 v[14:15], v[14:15], off
	s_waitcnt vmcnt(0)
	v_fmac_f64_e32 v[0:1], v[12:13], v[14:15]
.LBB4_19:                               ;   in Loop: Header=BB4_12 Depth=1
	s_add_i32 s4, s20, 3
	s_cmp_ge_i32 s4, s8
	v_lshlrev_b64 v[4:5], 3, v[4:5]
	s_cbranch_scc1 .LBB4_11
; %bb.20:                               ;   in Loop: Header=BB4_12 Depth=1
	v_add_u32_e32 v14, s11, v7
	s_waitcnt lgkmcnt(0)
	v_mov_b32_e32 v13, s15
	v_add_co_u32_e32 v12, vcc, s14, v4
	v_ashrrev_i32_e32 v15, 31, v14
	v_addc_co_u32_e32 v13, vcc, v13, v5, vcc
	v_lshlrev_b64 v[14:15], 3, v[14:15]
	v_mov_b32_e32 v16, s1
	v_add_co_u32_e32 v14, vcc, s0, v14
	v_addc_co_u32_e32 v15, vcc, v16, v15, vcc
	global_load_dwordx2 v[12:13], v[12:13], off
	s_nop 0
	global_load_dwordx2 v[14:15], v[14:15], off
	s_waitcnt vmcnt(0)
	v_fmac_f64_e32 v[0:1], v[12:13], v[14:15]
	s_branch .LBB4_11
.LBB4_21:                               ;   in Loop: Header=BB4_12 Depth=1
	s_branch .LBB4_18
.LBB4_22:
	s_endpgm
	.section	.rodata,"a",@progbits
	.p2align	6, 0x0
	.amdhsa_kernel _ZN9rocsparseL44gpsv_interleaved_batch_householder_qr_kernelILj256EdEEviiiPT0_S2_S2_S2_S2_S2_S2_S2_S2_
		.amdhsa_group_segment_fixed_size 0
		.amdhsa_private_segment_fixed_size 0
		.amdhsa_kernarg_size 344
		.amdhsa_user_sgpr_count 6
		.amdhsa_user_sgpr_private_segment_buffer 1
		.amdhsa_user_sgpr_dispatch_ptr 0
		.amdhsa_user_sgpr_queue_ptr 0
		.amdhsa_user_sgpr_kernarg_segment_ptr 1
		.amdhsa_user_sgpr_dispatch_id 0
		.amdhsa_user_sgpr_flat_scratch_init 0
		.amdhsa_user_sgpr_kernarg_preload_length 0
		.amdhsa_user_sgpr_kernarg_preload_offset 0
		.amdhsa_user_sgpr_private_segment_size 0
		.amdhsa_uses_dynamic_stack 0
		.amdhsa_system_sgpr_private_segment_wavefront_offset 0
		.amdhsa_system_sgpr_workgroup_id_x 1
		.amdhsa_system_sgpr_workgroup_id_y 0
		.amdhsa_system_sgpr_workgroup_id_z 0
		.amdhsa_system_sgpr_workgroup_info 0
		.amdhsa_system_vgpr_workitem_id 0
		.amdhsa_next_free_vgpr 80
		.amdhsa_next_free_sgpr 36
		.amdhsa_accum_offset 80
		.amdhsa_reserve_vcc 1
		.amdhsa_reserve_flat_scratch 0
		.amdhsa_float_round_mode_32 0
		.amdhsa_float_round_mode_16_64 0
		.amdhsa_float_denorm_mode_32 3
		.amdhsa_float_denorm_mode_16_64 3
		.amdhsa_dx10_clamp 1
		.amdhsa_ieee_mode 1
		.amdhsa_fp16_overflow 0
		.amdhsa_tg_split 0
		.amdhsa_exception_fp_ieee_invalid_op 0
		.amdhsa_exception_fp_denorm_src 0
		.amdhsa_exception_fp_ieee_div_zero 0
		.amdhsa_exception_fp_ieee_overflow 0
		.amdhsa_exception_fp_ieee_underflow 0
		.amdhsa_exception_fp_ieee_inexact 0
		.amdhsa_exception_int_div_zero 0
	.end_amdhsa_kernel
	.section	.text._ZN9rocsparseL44gpsv_interleaved_batch_householder_qr_kernelILj256EdEEviiiPT0_S2_S2_S2_S2_S2_S2_S2_S2_,"axG",@progbits,_ZN9rocsparseL44gpsv_interleaved_batch_householder_qr_kernelILj256EdEEviiiPT0_S2_S2_S2_S2_S2_S2_S2_S2_,comdat
.Lfunc_end4:
	.size	_ZN9rocsparseL44gpsv_interleaved_batch_householder_qr_kernelILj256EdEEviiiPT0_S2_S2_S2_S2_S2_S2_S2_S2_, .Lfunc_end4-_ZN9rocsparseL44gpsv_interleaved_batch_householder_qr_kernelILj256EdEEviiiPT0_S2_S2_S2_S2_S2_S2_S2_S2_
                                        ; -- End function
	.section	.AMDGPU.csdata,"",@progbits
; Kernel info:
; codeLenInByte = 2460
; NumSgprs: 40
; NumVgprs: 80
; NumAgprs: 0
; TotalNumVgprs: 80
; ScratchSize: 0
; MemoryBound: 0
; FloatMode: 240
; IeeeMode: 1
; LDSByteSize: 0 bytes/workgroup (compile time only)
; SGPRBlocks: 4
; VGPRBlocks: 9
; NumSGPRsForWavesPerEU: 40
; NumVGPRsForWavesPerEU: 80
; AccumOffset: 80
; Occupancy: 6
; WaveLimiterHint : 0
; COMPUTE_PGM_RSRC2:SCRATCH_EN: 0
; COMPUTE_PGM_RSRC2:USER_SGPR: 6
; COMPUTE_PGM_RSRC2:TRAP_HANDLER: 0
; COMPUTE_PGM_RSRC2:TGID_X_EN: 1
; COMPUTE_PGM_RSRC2:TGID_Y_EN: 0
; COMPUTE_PGM_RSRC2:TGID_Z_EN: 0
; COMPUTE_PGM_RSRC2:TIDIG_COMP_CNT: 0
; COMPUTE_PGM_RSRC3_GFX90A:ACCUM_OFFSET: 19
; COMPUTE_PGM_RSRC3_GFX90A:TG_SPLIT: 0
	.section	.text._ZN9rocsparseL39gpsv_interleaved_batch_givens_qr_kernelILj128EdEEviiiPT0_S2_S2_S2_S2_S2_S2_S2_,"axG",@progbits,_ZN9rocsparseL39gpsv_interleaved_batch_givens_qr_kernelILj128EdEEviiiPT0_S2_S2_S2_S2_S2_S2_S2_,comdat
	.globl	_ZN9rocsparseL39gpsv_interleaved_batch_givens_qr_kernelILj128EdEEviiiPT0_S2_S2_S2_S2_S2_S2_S2_ ; -- Begin function _ZN9rocsparseL39gpsv_interleaved_batch_givens_qr_kernelILj128EdEEviiiPT0_S2_S2_S2_S2_S2_S2_S2_
	.p2align	8
	.type	_ZN9rocsparseL39gpsv_interleaved_batch_givens_qr_kernelILj128EdEEviiiPT0_S2_S2_S2_S2_S2_S2_S2_,@function
_ZN9rocsparseL39gpsv_interleaved_batch_givens_qr_kernelILj128EdEEviiiPT0_S2_S2_S2_S2_S2_S2_S2_: ; @_ZN9rocsparseL39gpsv_interleaved_batch_givens_qr_kernelILj128EdEEviiiPT0_S2_S2_S2_S2_S2_S2_S2_
; %bb.0:
	s_load_dwordx4 s[28:31], s[4:5], 0x0
	s_waitcnt lgkmcnt(0)
	s_lshl_b32 s31, s6, 7
	v_or_b32_e32 v1, s31, v0
	v_cmp_gt_i32_e32 vcc, s29, v1
	s_and_saveexec_b64 s[0:1], vcc
	s_cbranch_execz .LBB5_7
; %bb.1:
	s_load_dwordx2 s[34:35], s[4:5], 0x48
	s_load_dwordx4 s[36:39], s[4:5], 0x38
	s_load_dwordx8 s[20:27], s[4:5], 0x18
	s_add_i32 s33, s28, -2
	s_cmp_lt_i32 s28, 3
	s_cbranch_scc1 .LBB5_4
; %bb.2:
	s_load_dwordx2 s[40:41], s[4:5], 0x10
	s_mov_b32 s42, 0
	s_lshl_b32 s44, s30, 1
	s_waitcnt lgkmcnt(0)
	v_mov_b32_e32 v16, s21
	v_mov_b32_e32 v17, s23
	;; [unrolled: 1-line block ×5, first 2 shown]
	s_brev_b32 s43, 8
	v_mov_b32_e32 v21, 0xffffff80
	v_mov_b32_e32 v22, 0x260
	v_mov_b32_e32 v23, s37
	v_mov_b32_e32 v24, s35
	v_mov_b32_e32 v25, s39
	v_mov_b32_e32 v6, v1
	s_mov_b32 s41, s33
	v_mov_b32_e32 v4, v1
.LBB5_3:                                ; =>This Inner Loop Header: Depth=1
	v_add_u32_e32 v8, s44, v6
	v_add_u32_e32 v2, s30, v6
	v_ashrrev_i32_e32 v9, 31, v8
	v_ashrrev_i32_e32 v3, 31, v2
	v_lshlrev_b64 v[26:27], 3, v[8:9]
	v_lshlrev_b64 v[14:15], 3, v[2:3]
	v_add_co_u32_e32 v28, vcc, s40, v26
	v_add_co_u32_e64 v30, s[0:1], s20, v14
	v_addc_co_u32_e32 v29, vcc, v19, v27, vcc
	v_addc_co_u32_e64 v31, vcc, v16, v15, s[0:1]
	global_load_dwordx2 v[40:41], v[28:29], off
	global_load_dwordx2 v[42:43], v[30:31], off
	v_add_co_u32_e64 v32, s[2:3], s20, v26
	v_add_co_u32_e64 v8, s[4:5], s22, v14
	;; [unrolled: 1-line block ×9, first 2 shown]
	v_addc_co_u32_e64 v33, vcc, v16, v27, s[2:3]
	v_addc_co_u32_e64 v9, vcc, v17, v15, s[4:5]
	;; [unrolled: 1-line block ×9, first 2 shown]
	v_ashrrev_i32_e32 v7, 31, v6
	v_lshlrev_b64 v[6:7], 3, v[6:7]
	s_add_i32 s41, s41, -1
	s_cmp_eq_u32 s41, 0
	s_waitcnt vmcnt(1)
	v_mul_f64 v[28:29], v[40:41], v[40:41]
	s_waitcnt vmcnt(0)
	v_fmac_f64_e32 v[28:29], v[42:43], v[42:43]
	v_cmp_gt_f64_e32 vcc, s[42:43], v[28:29]
	v_cndmask_b32_e64 v3, 0, 1, vcc
	v_lshlrev_b32_e32 v3, 8, v3
	v_ldexp_f64 v[28:29], v[28:29], v3
	v_rsq_f64_e32 v[44:45], v[28:29]
	v_cndmask_b32_e32 v5, 0, v21, vcc
	v_cmp_class_f64_e32 vcc, v[28:29], v22
	v_mul_f64 v[46:47], v[28:29], v[44:45]
	v_mul_f64 v[44:45], v[44:45], 0.5
	v_fma_f64 v[48:49], -v[44:45], v[46:47], 0.5
	v_fmac_f64_e32 v[46:47], v[46:47], v[48:49]
	v_fmac_f64_e32 v[44:45], v[44:45], v[48:49]
	v_fma_f64 v[48:49], -v[46:47], v[46:47], v[28:29]
	v_fmac_f64_e32 v[46:47], v[48:49], v[44:45]
	v_fma_f64 v[48:49], -v[46:47], v[46:47], v[28:29]
	v_fmac_f64_e32 v[46:47], v[48:49], v[44:45]
	v_ldexp_f64 v[44:45], v[46:47], v5
	v_cndmask_b32_e32 v29, v45, v29, vcc
	v_cndmask_b32_e32 v28, v44, v28, vcc
	v_div_scale_f64 v[44:45], s[0:1], v[28:29], v[28:29], v[42:43]
	v_rcp_f64_e32 v[50:51], v[44:45]
	v_div_scale_f64 v[46:47], vcc, v[42:43], v[28:29], v[42:43]
	v_div_scale_f64 v[48:49], s[0:1], v[28:29], v[28:29], v[40:41]
	v_fma_f64 v[52:53], -v[44:45], v[50:51], 1.0
	v_fmac_f64_e32 v[50:51], v[50:51], v[52:53]
	v_fma_f64 v[52:53], -v[44:45], v[50:51], 1.0
	v_fmac_f64_e32 v[50:51], v[50:51], v[52:53]
	v_mul_f64 v[52:53], v[46:47], v[50:51]
	v_fma_f64 v[44:45], -v[44:45], v[52:53], v[46:47]
	v_div_fmas_f64 v[44:45], v[44:45], v[50:51], v[52:53]
	v_rcp_f64_e32 v[50:51], v[48:49]
	v_div_scale_f64 v[46:47], s[0:1], v[40:41], v[28:29], v[40:41]
	v_div_fixup_f64 v[44:45], v[44:45], v[28:29], v[42:43]
	v_fma_f64 v[52:53], -v[48:49], v[50:51], 1.0
	v_fmac_f64_e32 v[50:51], v[50:51], v[52:53]
	v_fma_f64 v[52:53], -v[48:49], v[50:51], 1.0
	v_fmac_f64_e32 v[50:51], v[50:51], v[52:53]
	v_mul_f64 v[52:53], v[46:47], v[50:51]
	v_fma_f64 v[46:47], -v[48:49], v[52:53], v[46:47]
	v_add_co_u32_e32 v48, vcc, s22, v6
	v_addc_co_u32_e32 v49, vcc, v17, v7, vcc
	s_mov_b64 vcc, s[0:1]
	s_nop 2
	v_div_fmas_f64 v[46:47], v[46:47], v[50:51], v[52:53]
	global_load_dwordx2 v[50:51], v[32:33], off
	global_load_dwordx2 v[52:53], v[8:9], off
	v_div_fixup_f64 v[28:29], v[46:47], v[28:29], v[40:41]
	global_load_dwordx2 v[46:47], v[34:35], off
	v_mul_f64 v[40:41], v[40:41], v[28:29]
	v_fmac_f64_e32 v[40:41], v[42:43], v[44:45]
	global_load_dwordx2 v[42:43], v[10:11], off
	s_nop 0
	global_store_dwordx2 v[30:31], v[40:41], off
	s_waitcnt vmcnt(4)
	v_mul_f64 v[30:31], v[50:51], v[44:45]
	s_waitcnt vmcnt(3)
	v_fma_f64 v[30:31], -v[52:53], v[28:29], v[30:31]
	v_mul_f64 v[50:51], v[50:51], v[28:29]
	global_store_dwordx2 v[32:33], v[30:31], off
	v_fmac_f64_e32 v[50:51], v[52:53], v[44:45]
	s_waitcnt vmcnt(3)
	v_mul_f64 v[52:53], v[46:47], v[44:45]
	global_load_dwordx2 v[30:31], v[36:37], off
	global_load_dwordx2 v[32:33], v[12:13], off
	s_waitcnt vmcnt(4)
	v_fma_f64 v[52:53], -v[42:43], v[28:29], v[52:53]
	global_store_dwordx2 v[8:9], v[50:51], off
	global_store_dwordx2 v[34:35], v[52:53], off
	global_load_dwordx2 v[34:35], v[26:27], off
	s_nop 0
	global_load_dwordx2 v[52:53], v[14:15], off
	v_mul_f64 v[46:47], v[46:47], v[28:29]
	v_fmac_f64_e32 v[46:47], v[42:43], v[44:45]
	s_waitcnt vmcnt(5)
	v_mul_f64 v[42:43], v[44:45], v[30:31]
	v_mul_f64 v[30:31], v[28:29], v[30:31]
	s_waitcnt vmcnt(4)
	v_fma_f64 v[42:43], -v[32:33], v[28:29], v[42:43]
	v_fmac_f64_e32 v[30:31], v[32:33], v[44:45]
	s_waitcnt vmcnt(1)
	v_mul_f64 v[32:33], v[44:45], v[34:35]
	v_mul_f64 v[34:35], v[28:29], v[34:35]
	s_waitcnt vmcnt(0)
	v_fma_f64 v[32:33], -v[52:53], v[28:29], v[32:33]
	v_fmac_f64_e32 v[34:35], v[52:53], v[44:45]
	global_load_dwordx2 v[52:53], v[38:39], off
	s_waitcnt vmcnt(0)
	v_mul_f64 v[44:45], v[44:45], v[52:53]
	global_store_dwordx2 v[10:11], v[46:47], off
	global_store_dwordx2 v[36:37], v[42:43], off
	;; [unrolled: 1-line block ×6, first 2 shown]
	global_load_dwordx2 v[32:33], v[48:49], off
	v_mul_f64 v[26:27], v[40:41], v[40:41]
	v_mul_f64 v[28:29], v[28:29], v[52:53]
	global_load_dwordx2 v[58:59], v[14:15], off
	s_waitcnt vmcnt(1)
	v_fmac_f64_e32 v[26:27], v[32:33], v[32:33]
	v_cmp_gt_f64_e32 vcc, s[42:43], v[26:27]
	v_cndmask_b32_e64 v3, 0, 1, vcc
	v_lshlrev_b32_e32 v3, 8, v3
	v_ldexp_f64 v[26:27], v[26:27], v3
	v_rsq_f64_e32 v[34:35], v[26:27]
	v_cndmask_b32_e32 v5, 0, v21, vcc
	v_cmp_class_f64_e32 vcc, v[26:27], v22
	v_mul_f64 v[36:37], v[26:27], v[34:35]
	v_mul_f64 v[34:35], v[34:35], 0.5
	v_fma_f64 v[38:39], -v[34:35], v[36:37], 0.5
	v_fmac_f64_e32 v[36:37], v[36:37], v[38:39]
	v_fmac_f64_e32 v[34:35], v[34:35], v[38:39]
	v_fma_f64 v[38:39], -v[36:37], v[36:37], v[26:27]
	v_fmac_f64_e32 v[36:37], v[38:39], v[34:35]
	v_fma_f64 v[38:39], -v[36:37], v[36:37], v[26:27]
	v_fmac_f64_e32 v[36:37], v[38:39], v[34:35]
	v_ldexp_f64 v[34:35], v[36:37], v5
	v_cndmask_b32_e32 v27, v35, v27, vcc
	v_cndmask_b32_e32 v26, v34, v26, vcc
	v_div_scale_f64 v[34:35], s[0:1], v[26:27], v[26:27], v[32:33]
	v_rcp_f64_e32 v[42:43], v[34:35]
	v_div_scale_f64 v[36:37], vcc, v[32:33], v[26:27], v[32:33]
	v_div_scale_f64 v[38:39], s[0:1], v[26:27], v[26:27], v[40:41]
	v_fma_f64 v[44:45], -v[34:35], v[42:43], 1.0
	v_fmac_f64_e32 v[42:43], v[42:43], v[44:45]
	v_fma_f64 v[44:45], -v[34:35], v[42:43], 1.0
	v_fmac_f64_e32 v[42:43], v[42:43], v[44:45]
	v_mul_f64 v[44:45], v[36:37], v[42:43]
	v_fma_f64 v[34:35], -v[34:35], v[44:45], v[36:37]
	v_div_fmas_f64 v[34:35], v[34:35], v[42:43], v[44:45]
	v_rcp_f64_e32 v[42:43], v[38:39]
	v_div_scale_f64 v[36:37], s[0:1], v[40:41], v[26:27], v[40:41]
	v_ashrrev_i32_e32 v5, 31, v4
	v_fma_f64 v[44:45], -v[38:39], v[42:43], 1.0
	v_fmac_f64_e32 v[42:43], v[42:43], v[44:45]
	v_fma_f64 v[44:45], -v[38:39], v[42:43], 1.0
	v_fmac_f64_e32 v[42:43], v[42:43], v[44:45]
	v_mul_f64 v[44:45], v[36:37], v[42:43]
	v_fma_f64 v[36:37], -v[38:39], v[44:45], v[36:37]
	s_mov_b64 vcc, s[0:1]
	v_add_u32_e32 v38, s29, v4
	v_lshlrev_b64 v[4:5], 3, v[4:5]
	v_div_fmas_f64 v[36:37], v[36:37], v[42:43], v[44:45]
	v_add_co_u32_e64 v44, s[0:1], s38, v4
	v_div_fixup_f64 v[36:37], v[36:37], v[26:27], v[40:41]
	v_addc_co_u32_e64 v45, s[0:1], v25, v5, s[0:1]
	v_mul_f64 v[52:53], v[28:29], v[36:37]
	global_store_dwordx2 v[44:45], v[52:53], off
	v_add_co_u32_e64 v52, s[2:3], s36, v4
	v_addc_co_u32_e64 v53, s[2:3], v23, v5, s[2:3]
	v_ashrrev_i32_e32 v39, 31, v38
	v_add_co_u32_e32 v42, vcc, s24, v6
	v_add_co_u32_e64 v44, s[0:1], s26, v6
	v_add_co_u32_e64 v54, s[2:3], s34, v6
	v_addc_co_u32_e32 v43, vcc, v18, v7, vcc
	v_addc_co_u32_e64 v45, vcc, v20, v7, s[0:1]
	v_addc_co_u32_e64 v55, vcc, v24, v7, s[2:3]
	v_lshlrev_b64 v[4:5], 3, v[38:39]
	v_add_co_u32_e32 v56, vcc, s36, v4
	v_addc_co_u32_e32 v57, vcc, v23, v5, vcc
	global_load_dwordx2 v[4:5], v[42:43], off
	v_div_fixup_f64 v[26:27], v[34:35], v[26:27], v[32:33]
	v_mul_f64 v[6:7], v[40:41], v[36:37]
	v_fmac_f64_e32 v[6:7], v[32:33], v[26:27]
	global_store_dwordx2 v[56:57], v[28:29], off
	global_store_dwordx2 v[48:49], v[6:7], off
	v_mul_f64 v[6:7], v[50:51], v[26:27]
	global_load_dwordx2 v[32:33], v[44:45], off
	global_load_dwordx2 v[62:63], v[54:55], off
	v_mul_f64 v[48:49], v[50:51], v[36:37]
	v_mul_f64 v[50:51], v[30:31], v[26:27]
	;; [unrolled: 1-line block ×5, first 2 shown]
	s_waitcnt vmcnt(6)
	v_mul_f64 v[60:61], v[26:27], v[58:59]
	v_mul_f64 v[58:59], v[36:37], v[58:59]
	s_waitcnt vmcnt(4)
	v_fma_f64 v[40:41], -v[4:5], v[36:37], v[6:7]
	global_load_dwordx2 v[6:7], v[52:53], off
	v_fmac_f64_e32 v[48:49], v[4:5], v[26:27]
	v_mov_b32_e32 v4, v38
	s_waitcnt vmcnt(2)
	v_fma_f64 v[34:35], -v[32:33], v[36:37], v[34:35]
	v_fmac_f64_e32 v[46:47], v[32:33], v[26:27]
	s_waitcnt vmcnt(1)
	v_fmac_f64_e32 v[58:59], v[62:63], v[26:27]
	s_waitcnt vmcnt(0)
	v_fma_f64 v[50:51], -v[6:7], v[36:37], v[50:51]
	v_fmac_f64_e32 v[30:31], v[6:7], v[26:27]
	v_mov_b32_e32 v6, v2
	v_fma_f64 v[36:37], -v[62:63], v[36:37], v[60:61]
	v_mul_f64 v[2:3], v[28:29], v[26:27]
	global_store_dwordx2 v[8:9], v[40:41], off
	global_store_dwordx2 v[42:43], v[48:49], off
	;; [unrolled: 1-line block ×9, first 2 shown]
	s_cbranch_scc0 .LBB5_3
.LBB5_4:
	s_add_i32 s0, s28, -1
	s_mul_i32 s0, s0, s30
	v_add_u32_e32 v2, s0, v1
	v_ashrrev_i32_e32 v3, 31, v2
	v_lshlrev_b64 v[10:11], 3, v[2:3]
	s_waitcnt lgkmcnt(0)
	v_mov_b32_e32 v3, s21
	v_add_co_u32_e32 v2, vcc, s20, v10
	v_addc_co_u32_e32 v3, vcc, v3, v11, vcc
	s_sub_i32 s1, s0, s30
	global_load_dwordx2 v[12:13], v[2:3], off
	v_add_u32_e32 v2, s1, v1
	v_ashrrev_i32_e32 v3, 31, v2
	v_lshlrev_b64 v[6:7], 3, v[2:3]
	v_mov_b32_e32 v56, s23
	v_add_co_u32_e32 v4, vcc, s22, v6
	v_addc_co_u32_e32 v5, vcc, v56, v7, vcc
	global_load_dwordx2 v[14:15], v[4:5], off
	v_add_co_u32_e32 v16, vcc, s22, v10
	v_addc_co_u32_e32 v17, vcc, v56, v11, vcc
	v_mov_b32_e32 v57, s25
	v_add_co_u32_e32 v18, vcc, s24, v10
	v_addc_co_u32_e32 v19, vcc, v57, v11, vcc
	v_mov_b32_e32 v59, s35
	v_add_co_u32_e32 v2, vcc, s34, v10
	v_addc_co_u32_e32 v3, vcc, v59, v11, vcc
	v_add_co_u32_e32 v20, vcc, s24, v6
	v_addc_co_u32_e32 v21, vcc, v57, v7, vcc
	v_mov_b32_e32 v58, s27
	v_add_co_u32_e32 v22, vcc, s26, v6
	global_load_dwordx2 v[24:25], v[16:17], off
	global_load_dwordx2 v[26:27], v[20:21], off
	v_addc_co_u32_e32 v23, vcc, v58, v7, vcc
	v_add_co_u32_e32 v6, vcc, s34, v6
	v_addc_co_u32_e32 v7, vcc, v59, v7, vcc
	global_load_dwordx2 v[28:29], v[18:19], off
	global_load_dwordx2 v[30:31], v[22:23], off
	;; [unrolled: 1-line block ×4, first 2 shown]
	s_mul_i32 s4, s33, s29
	v_add_u32_e32 v36, s4, v1
	v_ashrrev_i32_e32 v37, 31, v36
	v_lshlrev_b64 v[8:9], 3, v[36:37]
	v_mov_b32_e32 v60, s37
	v_add_co_u32_e32 v38, vcc, s36, v8
	v_addc_co_u32_e32 v39, vcc, v60, v9, vcc
	s_mov_b32 s2, 0
	v_add_co_u32_e32 v10, vcc, s26, v10
	s_brev_b32 s3, 8
	v_addc_co_u32_e32 v11, vcc, v58, v11, vcc
	v_mov_b32_e32 v48, 0xffffff80
	v_mov_b32_e32 v52, 0x260
	global_load_dwordx2 v[44:45], v[38:39], off
	global_load_dwordx2 v[46:47], v[10:11], off
	s_sub_i32 s1, s1, s30
	s_waitcnt vmcnt(9)
	v_mul_f64 v[40:41], v[12:13], v[12:13]
	s_waitcnt vmcnt(8)
	v_fmac_f64_e32 v[40:41], v[14:15], v[14:15]
	v_cmp_gt_f64_e32 vcc, s[2:3], v[40:41]
	v_cndmask_b32_e64 v37, 0, 1, vcc
	v_lshlrev_b32_e32 v37, 8, v37
	v_ldexp_f64 v[40:41], v[40:41], v37
	v_rsq_f64_e32 v[42:43], v[40:41]
	v_cndmask_b32_e32 v37, 0, v48, vcc
	v_cmp_class_f64_e32 vcc, v[40:41], v52
	v_mul_f64 v[48:49], v[40:41], v[42:43]
	v_mul_f64 v[42:43], v[42:43], 0.5
	v_fma_f64 v[50:51], -v[42:43], v[48:49], 0.5
	v_fmac_f64_e32 v[48:49], v[48:49], v[50:51]
	v_fmac_f64_e32 v[42:43], v[42:43], v[50:51]
	v_fma_f64 v[50:51], -v[48:49], v[48:49], v[40:41]
	v_fmac_f64_e32 v[48:49], v[50:51], v[42:43]
	v_fma_f64 v[50:51], -v[48:49], v[48:49], v[40:41]
	v_fmac_f64_e32 v[48:49], v[50:51], v[42:43]
	v_ldexp_f64 v[42:43], v[48:49], v37
	v_cndmask_b32_e32 v41, v43, v41, vcc
	v_cndmask_b32_e32 v40, v42, v40, vcc
	v_div_scale_f64 v[42:43], s[2:3], v[40:41], v[40:41], v[14:15]
	v_rcp_f64_e32 v[48:49], v[42:43]
	v_div_scale_f64 v[50:51], vcc, v[14:15], v[40:41], v[14:15]
	v_div_scale_f64 v[52:53], s[2:3], v[40:41], v[40:41], v[12:13]
	v_fma_f64 v[54:55], -v[42:43], v[48:49], 1.0
	v_fmac_f64_e32 v[48:49], v[48:49], v[54:55]
	v_fma_f64 v[54:55], -v[42:43], v[48:49], 1.0
	v_fmac_f64_e32 v[48:49], v[48:49], v[54:55]
	v_mul_f64 v[54:55], v[50:51], v[48:49]
	v_fma_f64 v[42:43], -v[42:43], v[54:55], v[50:51]
	v_rcp_f64_e32 v[50:51], v[52:53]
	v_div_fmas_f64 v[42:43], v[42:43], v[48:49], v[54:55]
	v_div_scale_f64 v[48:49], vcc, v[12:13], v[40:41], v[12:13]
	v_fma_f64 v[54:55], -v[52:53], v[50:51], 1.0
	v_fmac_f64_e32 v[50:51], v[50:51], v[54:55]
	v_fma_f64 v[54:55], -v[52:53], v[50:51], 1.0
	v_fmac_f64_e32 v[50:51], v[50:51], v[54:55]
	v_mul_f64 v[54:55], v[48:49], v[50:51]
	v_fma_f64 v[48:49], -v[52:53], v[54:55], v[48:49]
	v_div_fmas_f64 v[48:49], v[48:49], v[50:51], v[54:55]
	v_div_fixup_f64 v[42:43], v[42:43], v[40:41], v[14:15]
	v_div_fixup_f64 v[40:41], v[48:49], v[40:41], v[12:13]
	v_mul_f64 v[12:13], v[12:13], v[40:41]
	v_fmac_f64_e32 v[12:13], v[14:15], v[42:43]
	s_waitcnt vmcnt(7)
	v_mul_f64 v[14:15], v[24:25], v[40:41]
	s_waitcnt vmcnt(6)
	v_fmac_f64_e32 v[14:15], v[26:27], v[42:43]
	global_store_dwordx2 v[20:21], v[14:15], off
	s_waitcnt vmcnt(6)
	v_mul_f64 v[14:15], v[28:29], v[42:43]
	s_waitcnt vmcnt(5)
	v_fma_f64 v[14:15], -v[30:31], v[40:41], v[14:15]
	global_store_dwordx2 v[4:5], v[12:13], off
	v_mul_f64 v[12:13], v[24:25], v[42:43]
	global_store_dwordx2 v[18:19], v[14:15], off
	s_waitcnt vmcnt(5)
	v_mul_f64 v[14:15], v[42:43], v[34:35]
	v_fma_f64 v[12:13], -v[26:27], v[40:41], v[12:13]
	v_fma_f64 v[14:15], -v[32:33], v[40:41], v[14:15]
	v_div_scale_f64 v[18:19], s[2:3], v[12:13], v[12:13], v[14:15]
	v_rcp_f64_e32 v[24:25], v[18:19]
	v_mul_f64 v[26:27], v[40:41], v[34:35]
	v_fmac_f64_e32 v[26:27], v[32:33], v[42:43]
	global_store_dwordx2 v[6:7], v[26:27], off
	v_fma_f64 v[26:27], -v[18:19], v[24:25], 1.0
	v_fmac_f64_e32 v[24:25], v[24:25], v[26:27]
	v_fma_f64 v[26:27], -v[18:19], v[24:25], 1.0
	v_fmac_f64_e32 v[24:25], v[24:25], v[26:27]
	v_div_scale_f64 v[26:27], vcc, v[14:15], v[12:13], v[14:15]
	v_mul_f64 v[32:33], v[26:27], v[24:25]
	v_fma_f64 v[18:19], -v[18:19], v[32:33], v[26:27]
	v_mul_f64 v[28:29], v[28:29], v[40:41]
	s_nop 0
	v_div_fmas_f64 v[18:19], v[18:19], v[24:25], v[32:33]
	v_div_fixup_f64 v[14:15], v[18:19], v[12:13], v[14:15]
	global_store_dwordx2 v[2:3], v[14:15], off
	global_load_dwordx2 v[18:19], v[6:7], off
	global_load_dwordx2 v[24:25], v[20:21], off
	v_add_u32_e32 v20, s1, v1
	global_store_dwordx2 v[16:17], v[12:13], off
	global_load_dwordx2 v[4:5], v[4:5], off
	v_add_u32_e32 v12, s29, v36
	v_ashrrev_i32_e32 v13, 31, v12
	v_lshlrev_b64 v[16:17], 3, v[12:13]
	v_add_co_u32_e32 v16, vcc, s36, v16
	v_addc_co_u32_e32 v17, vcc, v60, v17, vcc
	v_ashrrev_i32_e32 v21, 31, v20
	s_waitcnt vmcnt(9)
	v_mul_f64 v[48:49], v[42:43], v[46:47]
	v_fmac_f64_e32 v[28:29], v[30:31], v[42:43]
	global_load_dwordx2 v[26:27], v[16:17], off
	v_lshlrev_b64 v[20:21], 3, v[20:21]
	v_fma_f64 v[48:49], -v[44:45], v[40:41], v[48:49]
	global_store_dwordx2 v[22:23], v[28:29], off
	global_store_dwordx2 v[10:11], v[48:49], off
	v_add_co_u32_e32 v32, vcc, s34, v20
	v_addc_co_u32_e32 v33, vcc, v59, v21, vcc
	v_add_co_u32_e32 v34, vcc, s24, v20
	v_addc_co_u32_e32 v35, vcc, v57, v21, vcc
	;; [unrolled: 2-line block ×3, first 2 shown]
	global_load_dwordx2 v[10:11], v[34:35], off
	v_mad_u64_u32 v[12:13], s[2:3], s29, -3, v[12:13]
	s_sub_i32 s1, s1, s30
	v_ashrrev_i32_e32 v13, 31, v12
	v_lshlrev_b64 v[12:13], 3, v[12:13]
	v_mul_f64 v[46:47], v[40:41], v[46:47]
	v_fmac_f64_e32 v[46:47], v[44:45], v[42:43]
	s_cmp_lt_i32 s28, 5
	s_waitcnt vmcnt(6)
	v_fma_f64 v[14:15], -v[14:15], v[24:25], v[18:19]
	global_load_dwordx2 v[24:25], v[36:37], off
	s_waitcnt vmcnt(5)
	v_div_scale_f64 v[18:19], s[2:3], v[4:5], v[4:5], v[14:15]
	v_rcp_f64_e32 v[22:23], v[18:19]
	v_div_scale_f64 v[28:29], vcc, v[14:15], v[4:5], v[14:15]
	v_fma_f64 v[30:31], -v[18:19], v[22:23], 1.0
	v_fmac_f64_e32 v[22:23], v[22:23], v[30:31]
	v_fma_f64 v[30:31], -v[18:19], v[22:23], 1.0
	v_fmac_f64_e32 v[22:23], v[22:23], v[30:31]
	v_mul_f64 v[30:31], v[28:29], v[22:23]
	v_fma_f64 v[18:19], -v[18:19], v[30:31], v[28:29]
	v_div_fmas_f64 v[18:19], v[18:19], v[22:23], v[30:31]
	v_div_fixup_f64 v[4:5], v[18:19], v[4:5], v[14:15]
	global_store_dwordx2 v[6:7], v[4:5], off
	v_add_co_u32_e32 v20, vcc, s22, v20
	global_load_dwordx2 v[14:15], v[32:33], off
	global_load_dwordx2 v[18:19], v[2:3], off
	v_addc_co_u32_e32 v21, vcc, v56, v21, vcc
	global_load_dwordx2 v[20:21], v[20:21], off
	v_add_u32_e32 v22, s1, v1
	v_ashrrev_i32_e32 v23, 31, v22
	v_add_co_u32_e32 v12, vcc, s36, v12
	v_lshlrev_b64 v[22:23], 3, v[22:23]
	v_addc_co_u32_e32 v13, vcc, v60, v13, vcc
	v_add_co_u32_e32 v28, vcc, s34, v22
	v_addc_co_u32_e32 v29, vcc, v59, v23, vcc
	v_add_co_u32_e32 v30, vcc, s24, v22
	;; [unrolled: 2-line block ×3, first 2 shown]
	v_addc_co_u32_e32 v35, vcc, v58, v23, vcc
	s_waitcnt vmcnt(8)
	v_mul_f64 v[36:37], v[42:43], v[26:27]
	global_store_dwordx2 v[38:39], v[46:47], off
	global_store_dwordx2 v[16:17], v[36:37], off
	global_load_dwordx2 v[16:17], v[30:31], off
	s_nop 0
	global_load_dwordx2 v[36:37], v[34:35], off
	v_mov_b32_e32 v1, s39
	global_load_dwordx2 v[12:13], v[12:13], off
	s_waitcnt vmcnt(7)
	v_fma_f64 v[4:5], -v[4:5], v[10:11], v[14:15]
	s_waitcnt vmcnt(6)
	v_fma_f64 v[4:5], -v[24:25], v[18:19], v[4:5]
	s_waitcnt vmcnt(5)
	v_div_scale_f64 v[10:11], s[2:3], v[20:21], v[20:21], v[4:5]
	v_rcp_f64_e32 v[14:15], v[10:11]
	v_div_scale_f64 v[18:19], vcc, v[4:5], v[20:21], v[4:5]
	v_fma_f64 v[24:25], -v[10:11], v[14:15], 1.0
	v_fmac_f64_e32 v[14:15], v[14:15], v[24:25]
	v_fma_f64 v[24:25], -v[10:11], v[14:15], 1.0
	v_fmac_f64_e32 v[14:15], v[14:15], v[24:25]
	v_mul_f64 v[24:25], v[18:19], v[14:15]
	v_fma_f64 v[10:11], -v[10:11], v[24:25], v[18:19]
	v_div_fmas_f64 v[10:11], v[10:11], v[14:15], v[24:25]
	v_div_fixup_f64 v[4:5], v[10:11], v[20:21], v[4:5]
	global_store_dwordx2 v[32:33], v[4:5], off
	global_load_dwordx2 v[10:11], v[6:7], off
	global_load_dwordx2 v[14:15], v[28:29], off
	;; [unrolled: 1-line block ×3, first 2 shown]
	v_add_co_u32_e32 v2, vcc, s22, v22
	v_addc_co_u32_e32 v3, vcc, v56, v23, vcc
	global_load_dwordx2 v[2:3], v[2:3], off
	v_add_co_u32_e32 v6, vcc, s38, v8
	v_addc_co_u32_e32 v7, vcc, v1, v9, vcc
	v_mul_f64 v[8:9], v[40:41], v[26:27]
	global_store_dwordx2 v[6:7], v[8:9], off
	s_waitcnt vmcnt(3)
	v_fma_f64 v[4:5], -v[4:5], v[16:17], v[14:15]
	v_fma_f64 v[4:5], -v[36:37], v[10:11], v[4:5]
	s_waitcnt vmcnt(2)
	v_fma_f64 v[4:5], -v[12:13], v[18:19], v[4:5]
	s_waitcnt vmcnt(1)
	v_div_scale_f64 v[10:11], s[2:3], v[2:3], v[2:3], v[4:5]
	v_rcp_f64_e32 v[12:13], v[10:11]
	v_div_scale_f64 v[6:7], vcc, v[4:5], v[2:3], v[4:5]
	v_fma_f64 v[8:9], -v[10:11], v[12:13], 1.0
	v_fmac_f64_e32 v[12:13], v[12:13], v[8:9]
	v_fma_f64 v[8:9], -v[10:11], v[12:13], 1.0
	v_fmac_f64_e32 v[12:13], v[12:13], v[8:9]
	v_mul_f64 v[8:9], v[6:7], v[12:13]
	v_fma_f64 v[6:7], -v[10:11], v[8:9], v[6:7]
	v_div_fmas_f64 v[6:7], v[6:7], v[12:13], v[8:9]
	v_div_fixup_f64 v[2:3], v[6:7], v[2:3], v[4:5]
	global_store_dwordx2 v[28:29], v[2:3], off
	s_cbranch_scc1 .LBB5_7
; %bb.5:
	s_add_i32 s2, s28, -5
	s_add_i32 s1, s28, -4
	s_mul_i32 s3, s29, s2
	v_add_u32_e32 v1, s3, v0
	s_mul_i32 s3, s30, s1
	v_add_u32_e32 v2, s3, v0
	s_add_i32 s3, s28, -3
	s_mul_i32 s3, s30, s3
	v_add_u32_e32 v3, s3, v0
	s_mul_i32 s3, s30, s33
	v_add_u32_e32 v5, s0, v0
	;; [unrolled: 2-line block ×3, first 2 shown]
	v_add_u32_e32 v0, s0, v0
.LBB5_6:                                ; =>This Inner Loop Header: Depth=1
	v_add_u32_e32 v6, s31, v0
	v_ashrrev_i32_e32 v7, 31, v6
	v_lshlrev_b64 v[6:7], 3, v[6:7]
	v_mov_b32_e32 v26, s35
	v_add_co_u32_e32 v18, vcc, s34, v6
	v_add_u32_e32 v8, s31, v2
	v_addc_co_u32_e32 v19, vcc, v26, v7, vcc
	v_mov_b32_e32 v21, s25
	v_ashrrev_i32_e32 v9, 31, v8
	v_add_co_u32_e32 v20, vcc, s24, v6
	v_lshlrev_b64 v[8:9], 3, v[8:9]
	v_addc_co_u32_e32 v21, vcc, v21, v7, vcc
	v_add_co_u32_e32 v8, vcc, s34, v8
	v_add_u32_e32 v10, s31, v3
	v_addc_co_u32_e32 v9, vcc, v26, v9, vcc
	v_mov_b32_e32 v23, s27
	v_ashrrev_i32_e32 v11, 31, v10
	v_add_co_u32_e32 v22, vcc, s26, v6
	v_add_u32_e32 v12, s31, v1
	v_lshlrev_b64 v[10:11], 3, v[10:11]
	v_addc_co_u32_e32 v23, vcc, v23, v7, vcc
	v_ashrrev_i32_e32 v13, 31, v12
	v_add_co_u32_e32 v10, vcc, s34, v10
	v_add_u32_e32 v14, s31, v4
	v_lshlrev_b64 v[12:13], 3, v[12:13]
	v_addc_co_u32_e32 v11, vcc, v26, v11, vcc
	v_mov_b32_e32 v25, s37
	v_ashrrev_i32_e32 v15, 31, v14
	v_add_co_u32_e32 v24, vcc, s36, v12
	v_lshlrev_b64 v[14:15], 3, v[14:15]
	v_addc_co_u32_e32 v25, vcc, v25, v13, vcc
	v_add_co_u32_e32 v14, vcc, s34, v14
	v_add_u32_e32 v16, s31, v5
	v_addc_co_u32_e32 v15, vcc, v26, v15, vcc
	v_mov_b32_e32 v27, s39
	v_ashrrev_i32_e32 v17, 31, v16
	v_add_co_u32_e32 v12, vcc, s38, v12
	v_lshlrev_b64 v[16:17], 3, v[16:17]
	v_addc_co_u32_e32 v13, vcc, v27, v13, vcc
	v_add_co_u32_e32 v16, vcc, s34, v16
	v_addc_co_u32_e32 v17, vcc, v26, v17, vcc
	v_mov_b32_e32 v28, s23
	v_add_co_u32_e32 v6, vcc, s22, v6
	v_addc_co_u32_e32 v7, vcc, v28, v7, vcc
	global_load_dwordx2 v[26:27], v[18:19], off
	global_load_dwordx2 v[28:29], v[20:21], off
	;; [unrolled: 1-line block ×10, first 2 shown]
	s_add_i32 s1, s1, -1
	v_subrev_u32_e32 v1, s29, v1
	v_subrev_u32_e32 v2, s30, v2
	;; [unrolled: 1-line block ×6, first 2 shown]
	s_cmp_lg_u32 s1, 0
	s_waitcnt vmcnt(7)
	v_fma_f64 v[6:7], -v[28:29], v[30:31], v[26:27]
	s_waitcnt vmcnt(5)
	v_fma_f64 v[6:7], -v[32:33], v[34:35], v[6:7]
	;; [unrolled: 2-line block ×4, first 2 shown]
	s_waitcnt vmcnt(0)
	v_div_scale_f64 v[8:9], s[2:3], v[44:45], v[44:45], v[6:7]
	v_rcp_f64_e32 v[10:11], v[8:9]
	v_div_scale_f64 v[12:13], vcc, v[6:7], v[44:45], v[6:7]
	v_fma_f64 v[14:15], -v[8:9], v[10:11], 1.0
	v_fmac_f64_e32 v[10:11], v[10:11], v[14:15]
	v_fma_f64 v[14:15], -v[8:9], v[10:11], 1.0
	v_fmac_f64_e32 v[10:11], v[10:11], v[14:15]
	v_mul_f64 v[14:15], v[12:13], v[10:11]
	v_fma_f64 v[8:9], -v[8:9], v[14:15], v[12:13]
	v_div_fmas_f64 v[8:9], v[8:9], v[10:11], v[14:15]
	v_div_fixup_f64 v[6:7], v[8:9], v[44:45], v[6:7]
	global_store_dwordx2 v[18:19], v[6:7], off
	s_cbranch_scc1 .LBB5_6
.LBB5_7:
	s_endpgm
	.section	.rodata,"a",@progbits
	.p2align	6, 0x0
	.amdhsa_kernel _ZN9rocsparseL39gpsv_interleaved_batch_givens_qr_kernelILj128EdEEviiiPT0_S2_S2_S2_S2_S2_S2_S2_
		.amdhsa_group_segment_fixed_size 0
		.amdhsa_private_segment_fixed_size 0
		.amdhsa_kernarg_size 80
		.amdhsa_user_sgpr_count 6
		.amdhsa_user_sgpr_private_segment_buffer 1
		.amdhsa_user_sgpr_dispatch_ptr 0
		.amdhsa_user_sgpr_queue_ptr 0
		.amdhsa_user_sgpr_kernarg_segment_ptr 1
		.amdhsa_user_sgpr_dispatch_id 0
		.amdhsa_user_sgpr_flat_scratch_init 0
		.amdhsa_user_sgpr_kernarg_preload_length 0
		.amdhsa_user_sgpr_kernarg_preload_offset 0
		.amdhsa_user_sgpr_private_segment_size 0
		.amdhsa_uses_dynamic_stack 0
		.amdhsa_system_sgpr_private_segment_wavefront_offset 0
		.amdhsa_system_sgpr_workgroup_id_x 1
		.amdhsa_system_sgpr_workgroup_id_y 0
		.amdhsa_system_sgpr_workgroup_id_z 0
		.amdhsa_system_sgpr_workgroup_info 0
		.amdhsa_system_vgpr_workitem_id 0
		.amdhsa_next_free_vgpr 64
		.amdhsa_next_free_sgpr 45
		.amdhsa_accum_offset 64
		.amdhsa_reserve_vcc 1
		.amdhsa_reserve_flat_scratch 0
		.amdhsa_float_round_mode_32 0
		.amdhsa_float_round_mode_16_64 0
		.amdhsa_float_denorm_mode_32 3
		.amdhsa_float_denorm_mode_16_64 3
		.amdhsa_dx10_clamp 1
		.amdhsa_ieee_mode 1
		.amdhsa_fp16_overflow 0
		.amdhsa_tg_split 0
		.amdhsa_exception_fp_ieee_invalid_op 0
		.amdhsa_exception_fp_denorm_src 0
		.amdhsa_exception_fp_ieee_div_zero 0
		.amdhsa_exception_fp_ieee_overflow 0
		.amdhsa_exception_fp_ieee_underflow 0
		.amdhsa_exception_fp_ieee_inexact 0
		.amdhsa_exception_int_div_zero 0
	.end_amdhsa_kernel
	.section	.text._ZN9rocsparseL39gpsv_interleaved_batch_givens_qr_kernelILj128EdEEviiiPT0_S2_S2_S2_S2_S2_S2_S2_,"axG",@progbits,_ZN9rocsparseL39gpsv_interleaved_batch_givens_qr_kernelILj128EdEEviiiPT0_S2_S2_S2_S2_S2_S2_S2_,comdat
.Lfunc_end5:
	.size	_ZN9rocsparseL39gpsv_interleaved_batch_givens_qr_kernelILj128EdEEviiiPT0_S2_S2_S2_S2_S2_S2_S2_, .Lfunc_end5-_ZN9rocsparseL39gpsv_interleaved_batch_givens_qr_kernelILj128EdEEviiiPT0_S2_S2_S2_S2_S2_S2_S2_
                                        ; -- End function
	.section	.AMDGPU.csdata,"",@progbits
; Kernel info:
; codeLenInByte = 3768
; NumSgprs: 49
; NumVgprs: 64
; NumAgprs: 0
; TotalNumVgprs: 64
; ScratchSize: 0
; MemoryBound: 0
; FloatMode: 240
; IeeeMode: 1
; LDSByteSize: 0 bytes/workgroup (compile time only)
; SGPRBlocks: 6
; VGPRBlocks: 7
; NumSGPRsForWavesPerEU: 49
; NumVGPRsForWavesPerEU: 64
; AccumOffset: 64
; Occupancy: 8
; WaveLimiterHint : 0
; COMPUTE_PGM_RSRC2:SCRATCH_EN: 0
; COMPUTE_PGM_RSRC2:USER_SGPR: 6
; COMPUTE_PGM_RSRC2:TRAP_HANDLER: 0
; COMPUTE_PGM_RSRC2:TGID_X_EN: 1
; COMPUTE_PGM_RSRC2:TGID_Y_EN: 0
; COMPUTE_PGM_RSRC2:TGID_Z_EN: 0
; COMPUTE_PGM_RSRC2:TIDIG_COMP_CNT: 0
; COMPUTE_PGM_RSRC3_GFX90A:ACCUM_OFFSET: 15
; COMPUTE_PGM_RSRC3_GFX90A:TG_SPLIT: 0
	.section	.text._ZN9rocsparseL19gpsv_strided_gatherILj256E21rocsparse_complex_numIfEEEviiiPKT0_PS3_,"axG",@progbits,_ZN9rocsparseL19gpsv_strided_gatherILj256E21rocsparse_complex_numIfEEEviiiPKT0_PS3_,comdat
	.globl	_ZN9rocsparseL19gpsv_strided_gatherILj256E21rocsparse_complex_numIfEEEviiiPKT0_PS3_ ; -- Begin function _ZN9rocsparseL19gpsv_strided_gatherILj256E21rocsparse_complex_numIfEEEviiiPKT0_PS3_
	.p2align	8
	.type	_ZN9rocsparseL19gpsv_strided_gatherILj256E21rocsparse_complex_numIfEEEviiiPKT0_PS3_,@function
_ZN9rocsparseL19gpsv_strided_gatherILj256E21rocsparse_complex_numIfEEEviiiPKT0_PS3_: ; @_ZN9rocsparseL19gpsv_strided_gatherILj256E21rocsparse_complex_numIfEEEviiiPKT0_PS3_
; %bb.0:
	s_load_dword s7, s[4:5], 0x2c
	s_load_dwordx4 s[0:3], s[4:5], 0x0
	s_waitcnt lgkmcnt(0)
	s_and_b32 s3, s7, 0xffff
	s_mul_i32 s6, s6, s3
	s_cmp_gt_i32 s0, 0
	v_add_u32_e32 v0, s6, v0
	v_cmp_gt_i32_e32 vcc, s1, v0
	s_cselect_b64 s[6:7], -1, 0
	s_and_b64 s[6:7], vcc, s[6:7]
	s_and_saveexec_b64 s[8:9], s[6:7]
	s_cbranch_execz .LBB6_3
; %bb.1:
	s_load_dwordx4 s[4:7], s[4:5], 0x10
	v_mov_b32_e32 v2, v0
	s_waitcnt lgkmcnt(0)
	v_mov_b32_e32 v4, s5
	v_mov_b32_e32 v5, s7
.LBB6_2:                                ; =>This Inner Loop Header: Depth=1
	v_ashrrev_i32_e32 v1, 31, v0
	v_lshlrev_b64 v[6:7], 3, v[0:1]
	v_add_co_u32_e32 v6, vcc, s4, v6
	v_addc_co_u32_e32 v7, vcc, v4, v7, vcc
	global_load_dwordx2 v[6:7], v[6:7], off
	v_ashrrev_i32_e32 v3, 31, v2
	v_lshlrev_b64 v[8:9], 3, v[2:3]
	s_add_i32 s0, s0, -1
	v_add_co_u32_e32 v8, vcc, s6, v8
	v_add_u32_e32 v2, s1, v2
	s_cmp_lg_u32 s0, 0
	v_addc_co_u32_e32 v9, vcc, v5, v9, vcc
	v_add_u32_e32 v0, s2, v0
	s_waitcnt vmcnt(0)
	global_store_dwordx2 v[8:9], v[6:7], off
	s_cbranch_scc1 .LBB6_2
.LBB6_3:
	s_endpgm
	.section	.rodata,"a",@progbits
	.p2align	6, 0x0
	.amdhsa_kernel _ZN9rocsparseL19gpsv_strided_gatherILj256E21rocsparse_complex_numIfEEEviiiPKT0_PS3_
		.amdhsa_group_segment_fixed_size 0
		.amdhsa_private_segment_fixed_size 0
		.amdhsa_kernarg_size 288
		.amdhsa_user_sgpr_count 6
		.amdhsa_user_sgpr_private_segment_buffer 1
		.amdhsa_user_sgpr_dispatch_ptr 0
		.amdhsa_user_sgpr_queue_ptr 0
		.amdhsa_user_sgpr_kernarg_segment_ptr 1
		.amdhsa_user_sgpr_dispatch_id 0
		.amdhsa_user_sgpr_flat_scratch_init 0
		.amdhsa_user_sgpr_kernarg_preload_length 0
		.amdhsa_user_sgpr_kernarg_preload_offset 0
		.amdhsa_user_sgpr_private_segment_size 0
		.amdhsa_uses_dynamic_stack 0
		.amdhsa_system_sgpr_private_segment_wavefront_offset 0
		.amdhsa_system_sgpr_workgroup_id_x 1
		.amdhsa_system_sgpr_workgroup_id_y 0
		.amdhsa_system_sgpr_workgroup_id_z 0
		.amdhsa_system_sgpr_workgroup_info 0
		.amdhsa_system_vgpr_workitem_id 0
		.amdhsa_next_free_vgpr 10
		.amdhsa_next_free_sgpr 10
		.amdhsa_accum_offset 12
		.amdhsa_reserve_vcc 1
		.amdhsa_reserve_flat_scratch 0
		.amdhsa_float_round_mode_32 0
		.amdhsa_float_round_mode_16_64 0
		.amdhsa_float_denorm_mode_32 3
		.amdhsa_float_denorm_mode_16_64 3
		.amdhsa_dx10_clamp 1
		.amdhsa_ieee_mode 1
		.amdhsa_fp16_overflow 0
		.amdhsa_tg_split 0
		.amdhsa_exception_fp_ieee_invalid_op 0
		.amdhsa_exception_fp_denorm_src 0
		.amdhsa_exception_fp_ieee_div_zero 0
		.amdhsa_exception_fp_ieee_overflow 0
		.amdhsa_exception_fp_ieee_underflow 0
		.amdhsa_exception_fp_ieee_inexact 0
		.amdhsa_exception_int_div_zero 0
	.end_amdhsa_kernel
	.section	.text._ZN9rocsparseL19gpsv_strided_gatherILj256E21rocsparse_complex_numIfEEEviiiPKT0_PS3_,"axG",@progbits,_ZN9rocsparseL19gpsv_strided_gatherILj256E21rocsparse_complex_numIfEEEviiiPKT0_PS3_,comdat
.Lfunc_end6:
	.size	_ZN9rocsparseL19gpsv_strided_gatherILj256E21rocsparse_complex_numIfEEEviiiPKT0_PS3_, .Lfunc_end6-_ZN9rocsparseL19gpsv_strided_gatherILj256E21rocsparse_complex_numIfEEEviiiPKT0_PS3_
                                        ; -- End function
	.section	.AMDGPU.csdata,"",@progbits
; Kernel info:
; codeLenInByte = 168
; NumSgprs: 14
; NumVgprs: 10
; NumAgprs: 0
; TotalNumVgprs: 10
; ScratchSize: 0
; MemoryBound: 0
; FloatMode: 240
; IeeeMode: 1
; LDSByteSize: 0 bytes/workgroup (compile time only)
; SGPRBlocks: 1
; VGPRBlocks: 1
; NumSGPRsForWavesPerEU: 14
; NumVGPRsForWavesPerEU: 10
; AccumOffset: 12
; Occupancy: 8
; WaveLimiterHint : 0
; COMPUTE_PGM_RSRC2:SCRATCH_EN: 0
; COMPUTE_PGM_RSRC2:USER_SGPR: 6
; COMPUTE_PGM_RSRC2:TRAP_HANDLER: 0
; COMPUTE_PGM_RSRC2:TGID_X_EN: 1
; COMPUTE_PGM_RSRC2:TGID_Y_EN: 0
; COMPUTE_PGM_RSRC2:TGID_Z_EN: 0
; COMPUTE_PGM_RSRC2:TIDIG_COMP_CNT: 0
; COMPUTE_PGM_RSRC3_GFX90A:ACCUM_OFFSET: 2
; COMPUTE_PGM_RSRC3_GFX90A:TG_SPLIT: 0
	.section	.text._ZN9rocsparseL44gpsv_interleaved_batch_householder_qr_kernelILj256E21rocsparse_complex_numIfEEEviiiPT0_S4_S4_S4_S4_S4_S4_S4_S4_,"axG",@progbits,_ZN9rocsparseL44gpsv_interleaved_batch_householder_qr_kernelILj256E21rocsparse_complex_numIfEEEviiiPT0_S4_S4_S4_S4_S4_S4_S4_S4_,comdat
	.globl	_ZN9rocsparseL44gpsv_interleaved_batch_householder_qr_kernelILj256E21rocsparse_complex_numIfEEEviiiPT0_S4_S4_S4_S4_S4_S4_S4_S4_ ; -- Begin function _ZN9rocsparseL44gpsv_interleaved_batch_householder_qr_kernelILj256E21rocsparse_complex_numIfEEEviiiPT0_S4_S4_S4_S4_S4_S4_S4_S4_
	.p2align	8
	.type	_ZN9rocsparseL44gpsv_interleaved_batch_householder_qr_kernelILj256E21rocsparse_complex_numIfEEEviiiPT0_S4_S4_S4_S4_S4_S4_S4_S4_,@function
_ZN9rocsparseL44gpsv_interleaved_batch_householder_qr_kernelILj256E21rocsparse_complex_numIfEEEviiiPT0_S4_S4_S4_S4_S4_S4_S4_S4_: ; @_ZN9rocsparseL44gpsv_interleaved_batch_householder_qr_kernelILj256E21rocsparse_complex_numIfEEEviiiPT0_S4_S4_S4_S4_S4_S4_S4_S4_
; %bb.0:
	s_load_dword s0, s[4:5], 0x64
	s_load_dwordx4 s[8:11], s[4:5], 0x0
	s_waitcnt lgkmcnt(0)
	s_and_b32 s0, s0, 0xffff
	s_mul_i32 s11, s6, s0
	v_add_u32_e32 v1, s11, v0
	v_cmp_gt_i32_e32 vcc, s9, v1
	s_and_saveexec_b64 s[0:1], vcc
	s_cbranch_execz .LBB7_28
; %bb.1:
	s_load_dwordx2 s[6:7], s[4:5], 0x50
	s_load_dwordx4 s[12:15], s[4:5], 0x40
	s_load_dwordx4 s[16:19], s[4:5], 0x20
	s_load_dwordx2 s[24:25], s[4:5], 0x30
	s_add_i32 s33, s8, -1
	s_cmp_lt_i32 s8, 2
	s_cbranch_scc1 .LBB7_15
; %bb.2:
	s_load_dwordx4 s[20:23], s[4:5], 0x10
	v_add_u32_e32 v1, s9, v0
	v_lshl_add_u32 v35, s9, 1, v0
	v_add_u32_e32 v37, s10, v0
	v_lshl_add_u32 v39, s10, 1, v0
	s_waitcnt lgkmcnt(0)
	v_mov_b32_e32 v41, s23
	v_mov_b32_e32 v43, s17
	;; [unrolled: 1-line block ×5, first 2 shown]
	s_mov_b32 s36, 0xf800000
	v_mov_b32_e32 v71, 0x260
	v_mov_b32_e32 v72, v0
	s_mov_b32 s37, s33
	v_mov_b32_e32 v73, v0
	s_branch .LBB7_4
.LBB7_3:                                ;   in Loop: Header=BB7_4 Depth=1
	s_or_b64 exec, exec, s[28:29]
	s_add_i32 s37, s37, -1
	v_add_u32_e32 v1, s9, v1
	v_add_u32_e32 v35, s9, v35
	;; [unrolled: 1-line block ×5, first 2 shown]
	s_cmp_eq_u32 s37, 0
	v_add_u32_e32 v72, s10, v72
	s_cbranch_scc1 .LBB7_15
.LBB7_4:                                ; =>This Inner Loop Header: Depth=1
	v_add_u32_e32 v2, s11, v37
	v_ashrrev_i32_e32 v3, 31, v2
	v_lshlrev_b64 v[2:3], 3, v[2:3]
	v_add_co_u32_e32 v28, vcc, s22, v2
	v_addc_co_u32_e32 v29, vcc, v41, v3, vcc
	v_add_co_u32_e32 v24, vcc, s16, v2
	v_addc_co_u32_e32 v25, vcc, v43, v3, vcc
	v_add_co_u32_e32 v18, vcc, s18, v2
	v_add_u32_e32 v4, s11, v1
	v_addc_co_u32_e32 v19, vcc, v68, v3, vcc
	v_add_co_u32_e32 v20, vcc, s24, v2
	v_ashrrev_i32_e32 v5, 31, v4
	v_addc_co_u32_e32 v21, vcc, v69, v3, vcc
	v_lshlrev_b64 v[46:47], 3, v[4:5]
	v_add_co_u32_e32 v16, vcc, s6, v46
	v_addc_co_u32_e32 v17, vcc, v70, v47, vcc
	global_load_dwordx2 v[44:45], v[28:29], off
	global_load_dwordx2 v[32:33], v[24:25], off
	;; [unrolled: 1-line block ×5, first 2 shown]
	s_cmp_lg_u32 s37, 1
	v_mov_b32_e32 v60, 0
	s_cselect_b64 s[26:27], -1, 0
	s_cmp_eq_u32 s37, 1
	v_add_u32_e32 v6, s11, v39
	v_add_u32_e32 v2, s11, v35
	v_mov_b32_e32 v61, v60
	v_mov_b32_e32 v14, v60
	;; [unrolled: 1-line block ×11, first 2 shown]
	s_cbranch_scc1 .LBB7_6
; %bb.5:                                ;   in Loop: Header=BB7_4 Depth=1
	v_ashrrev_i32_e32 v7, 31, v6
	v_lshlrev_b64 v[4:5], 3, v[6:7]
	v_mov_b32_e32 v3, s21
	v_add_co_u32_e32 v48, vcc, s20, v4
	v_addc_co_u32_e32 v49, vcc, v3, v5, vcc
	v_add_co_u32_e32 v8, vcc, s22, v4
	v_addc_co_u32_e32 v9, vcc, v41, v5, vcc
	global_load_dwordx2 v[14:15], v[8:9], off
	v_add_co_u32_e32 v8, vcc, s16, v4
	v_addc_co_u32_e32 v9, vcc, v43, v5, vcc
	global_load_dwordx2 v[12:13], v[8:9], off
	v_add_co_u32_e32 v8, vcc, s18, v4
	v_addc_co_u32_e32 v9, vcc, v68, v5, vcc
	v_add_co_u32_e32 v4, vcc, s24, v4
	v_addc_co_u32_e32 v5, vcc, v69, v5, vcc
	v_ashrrev_i32_e32 v3, 31, v2
	global_load_dwordx2 v[10:11], v[8:9], off
	s_waitcnt vmcnt(2)
	v_mov_b32_e32 v34, v15
	global_load_dwordx2 v[8:9], v[4:5], off
	v_lshlrev_b64 v[4:5], 3, v[2:3]
	v_add_co_u32_e32 v50, vcc, s6, v4
	v_addc_co_u32_e32 v51, vcc, v70, v5, vcc
	global_load_dwordx2 v[4:5], v[50:51], off
	global_load_dwordx2 v[60:61], v[48:49], off
	s_waitcnt vmcnt(4)
	v_mov_b32_e32 v36, v13
	s_waitcnt vmcnt(3)
	v_mov_b32_e32 v38, v11
	s_waitcnt vmcnt(2)
	v_mov_b32_e32 v40, v9
	s_waitcnt vmcnt(1)
	v_mov_b32_e32 v42, v5
.LBB7_6:                                ;   in Loop: Header=BB7_4 Depth=1
	s_waitcnt vmcnt(0)
	v_xor_b32_e32 v50, 0x80000000, v61
	v_mov_b32_e32 v54, v61
	v_mov_b32_e32 v51, v60
	v_pk_mul_f32 v[50:51], v[54:55], v[50:51] op_sel_hi:[0,1]
	v_pk_fma_f32 v[50:51], v[60:61], v[60:61], v[50:51] op_sel_hi:[1,0,1]
	v_xor_b32_e32 v52, 0x80000000, v45
	v_pk_fma_f32 v[50:51], v[44:45], v[44:45], v[50:51] op_sel_hi:[1,0,1]
	v_mov_b32_e32 v53, v44
	v_pk_fma_f32 v[64:65], v[52:53], v[44:45], v[50:51] op_sel:[0,1,0]
	v_cmp_neq_f32_e32 vcc, 0, v64
	v_cmp_neq_f32_e64 s[0:1], 0, v65
	v_mov_b32_e32 v48, v60
	v_mov_b32_e32 v49, v60
	;; [unrolled: 1-line block ×4, first 2 shown]
	s_or_b64 s[0:1], vcc, s[0:1]
	s_and_saveexec_b64 s[28:29], s[0:1]
	s_cbranch_execz .LBB7_3
; %bb.7:                                ;   in Loop: Header=BB7_4 Depth=1
	v_add_u32_e32 v50, s11, v72
	v_ashrrev_i32_e32 v51, 31, v50
	v_lshlrev_b64 v[62:63], 3, v[50:51]
	v_mov_b32_e32 v3, s17
	v_add_co_u32_e32 v50, vcc, s16, v62
	v_addc_co_u32_e32 v51, vcc, v3, v63, vcc
	global_load_dwordx2 v[52:53], v[50:51], off
                                        ; implicit-def: $vgpr9
	s_waitcnt vmcnt(0)
	v_xor_b32_e32 v56, 0x80000000, v53
	v_mov_b32_e32 v57, v52
	v_pk_fma_f32 v[58:59], v[52:53], v[52:53], v[64:65] op_sel_hi:[1,0,1]
	v_pk_fma_f32 v[66:67], v[56:57], v[52:53], v[58:59] op_sel:[0,1,0]
	v_cmp_gt_f32_e32 vcc, 0, v66
	v_cmp_gt_f32_e64 s[0:1], 0, v67
	v_cndmask_b32_e64 v3, v66, -v66, vcc
	v_cndmask_b32_e64 v7, v67, -v67, s[0:1]
	v_cmp_ngt_f32_e32 vcc, v3, v7
	s_and_saveexec_b64 s[2:3], vcc
	s_xor_b64 s[30:31], exec, s[2:3]
	s_cbranch_execz .LBB7_11
; %bb.8:                                ;   in Loop: Header=BB7_4 Depth=1
	v_cmp_neq_f32_e32 vcc, 0, v67
	v_mov_b32_e32 v9, 0
	s_and_saveexec_b64 s[34:35], vcc
	s_cbranch_execz .LBB7_10
; %bb.9:                                ;   in Loop: Header=BB7_4 Depth=1
	v_div_scale_f32 v9, s[2:3], v7, v7, v3
	v_rcp_f32_e32 v11, v9
	v_div_scale_f32 v13, vcc, v3, v7, v3
	v_fma_f32 v15, -v9, v11, 1.0
	v_fmac_f32_e32 v11, v15, v11
	v_mul_f32_e32 v15, v13, v11
	v_fma_f32 v56, -v9, v15, v13
	v_fmac_f32_e32 v15, v56, v11
	v_fma_f32 v9, -v9, v15, v13
	v_div_fmas_f32 v9, v9, v11, v15
	v_div_fixup_f32 v3, v9, v7, v3
	v_fma_f32 v3, v3, v3, 1.0
	v_mul_f32_e32 v9, 0x4f800000, v3
	v_cmp_gt_f32_e32 vcc, s36, v3
	v_cndmask_b32_e32 v3, v3, v9, vcc
	v_sqrt_f32_e32 v9, v3
	v_add_u32_e32 v11, -1, v9
	v_fma_f32 v13, -v11, v9, v3
	v_cmp_ge_f32_e64 s[2:3], 0, v13
	v_add_u32_e32 v13, 1, v9
	v_cndmask_b32_e64 v11, v9, v11, s[2:3]
	v_fma_f32 v9, -v13, v9, v3
	v_cmp_lt_f32_e64 s[2:3], 0, v9
	v_cndmask_b32_e64 v9, v11, v13, s[2:3]
	v_mul_f32_e32 v11, 0x37800000, v9
	v_cndmask_b32_e32 v9, v9, v11, vcc
	v_cmp_class_f32_e32 vcc, v3, v71
	v_cndmask_b32_e32 v3, v9, v3, vcc
	v_mul_f32_e32 v9, v7, v3
.LBB7_10:                               ;   in Loop: Header=BB7_4 Depth=1
	s_or_b64 exec, exec, s[34:35]
                                        ; implicit-def: $vgpr3
                                        ; implicit-def: $vgpr7
.LBB7_11:                               ;   in Loop: Header=BB7_4 Depth=1
	s_or_saveexec_b64 s[30:31], s[30:31]
	v_mov_b32_e32 v56, v61
	v_mov_b32_e32 v57, v61
	;; [unrolled: 1-line block ×4, first 2 shown]
	s_xor_b64 exec, exec, s[30:31]
	s_cbranch_execz .LBB7_13
; %bb.12:                               ;   in Loop: Header=BB7_4 Depth=1
	v_div_scale_f32 v9, s[2:3], v3, v3, v7
	v_rcp_f32_e32 v11, v9
	v_div_scale_f32 v13, vcc, v7, v3, v7
	v_fma_f32 v15, -v9, v11, 1.0
	v_fmac_f32_e32 v11, v15, v11
	v_mul_f32_e32 v15, v13, v11
	v_fma_f32 v67, -v9, v15, v13
	v_fmac_f32_e32 v15, v67, v11
	v_fma_f32 v9, -v9, v15, v13
	v_div_fmas_f32 v9, v9, v11, v15
	v_div_fixup_f32 v7, v9, v3, v7
	v_fma_f32 v7, v7, v7, 1.0
	v_mul_f32_e32 v9, 0x4f800000, v7
	v_cmp_gt_f32_e32 vcc, s36, v7
	v_cndmask_b32_e32 v7, v7, v9, vcc
	v_sqrt_f32_e32 v9, v7
	v_add_u32_e32 v11, -1, v9
	v_fma_f32 v15, -v11, v9, v7
	v_add_u32_e32 v13, 1, v9
	v_cmp_ge_f32_e64 s[2:3], 0, v15
	v_cndmask_b32_e64 v11, v9, v11, s[2:3]
	v_fma_f32 v9, -v13, v9, v7
	v_cmp_lt_f32_e64 s[2:3], 0, v9
	v_cndmask_b32_e64 v9, v11, v13, s[2:3]
	v_mul_f32_e32 v11, 0x37800000, v9
	v_cndmask_b32_e32 v9, v9, v11, vcc
	v_cmp_class_f32_e32 vcc, v7, v71
	v_cndmask_b32_e32 v7, v9, v7, vcc
	v_mul_f32_e32 v9, v3, v7
.LBB7_13:                               ;   in Loop: Header=BB7_4 Depth=1
	s_or_b64 exec, exec, s[30:31]
	v_add_f32_e32 v3, v66, v9
	v_mul_f32_e32 v3, 0.5, v3
	v_mul_f32_e32 v7, 0x4f800000, v3
	v_cmp_gt_f32_e32 vcc, s36, v3
	v_cndmask_b32_e32 v3, v3, v7, vcc
	v_sqrt_f32_e32 v7, v3
	v_sub_f32_e32 v9, v9, v66
	v_mul_f32_e32 v9, 0.5, v9
	v_xor_b32_e32 v77, 0x80000000, v60
	v_add_u32_e32 v11, -1, v7
	v_fma_f32 v15, -v11, v7, v3
	v_add_u32_e32 v13, 1, v7
	v_cmp_ge_f32_e64 s[2:3], 0, v15
	v_cndmask_b32_e64 v11, v7, v11, s[2:3]
	v_fma_f32 v7, -v13, v7, v3
	v_cmp_lt_f32_e64 s[2:3], 0, v7
	v_cndmask_b32_e64 v7, v11, v13, s[2:3]
	v_mul_f32_e32 v13, 0x4f800000, v9
	v_cmp_gt_f32_e64 s[2:3], s36, v9
	v_cndmask_b32_e64 v9, v9, v13, s[2:3]
	v_sqrt_f32_e32 v13, v9
	v_mul_f32_e32 v11, 0x37800000, v7
	v_cndmask_b32_e32 v7, v7, v11, vcc
	v_cmp_class_f32_e32 vcc, v3, v71
	v_cndmask_b32_e32 v3, v7, v3, vcc
	v_add_u32_e32 v7, -1, v13
	v_fma_f32 v11, -v7, v13, v9
	v_cmp_ge_f32_e32 vcc, 0, v11
	v_add_u32_e32 v11, 1, v13
	v_cndmask_b32_e32 v7, v13, v7, vcc
	v_fma_f32 v13, -v11, v13, v9
	v_cmp_lt_f32_e32 vcc, 0, v13
	v_cndmask_b32_e32 v7, v7, v11, vcc
	v_mul_f32_e32 v11, 0x37800000, v7
	v_cndmask_b32_e64 v7, v7, v11, s[2:3]
	v_cmp_class_f32_e32 vcc, v9, v71
	v_cndmask_b32_e32 v7, v7, v9, vcc
	v_cmp_lt_f32_e32 vcc, 0, v52
	v_cndmask_b32_e64 v7, v7, -v7, s[0:1]
	v_cndmask_b32_e64 v3, -v3, v3, vcc
	v_add_f32_e32 v66, v52, v3
	v_cndmask_b32_e64 v3, -v7, v7, vcc
	v_add_f32_e32 v74, v53, v3
	v_mul_f32_e32 v3, v74, v74
	v_fmac_f32_e32 v3, v66, v66
	v_div_scale_f32 v7, s[0:1], v3, v3, 1.0
	v_rcp_f32_e32 v9, v7
	v_mov_b32_e32 v76, v61
	v_pk_mul_f32 v[76:77], v[76:77], v[74:75] op_sel_hi:[1,0]
	v_pk_fma_f32 v[60:61], v[60:61], v[66:67], v[76:77] op_sel_hi:[1,0,1]
	v_fma_f32 v11, -v7, v9, 1.0
	v_fmac_f32_e32 v9, v11, v9
	v_div_scale_f32 v11, vcc, 1.0, v3, 1.0
	v_mul_f32_e32 v13, v11, v9
	v_fma_f32 v15, -v7, v13, v11
	v_fmac_f32_e32 v13, v15, v9
	v_fma_f32 v7, -v7, v13, v11
	v_div_fmas_f32 v7, v7, v9, v13
	v_mul_f32_e64 v9, v74, -v74
	v_mul_f32_e32 v11, v66, v74
	v_fmac_f32_e32 v9, v66, v66
	v_fmac_f32_e32 v11, v74, v66
	v_add_f32_e32 v15, v64, v9
	v_add_f32_e32 v67, v65, v11
	v_mov_b32_e32 v65, s19
	v_add_co_u32_e32 v64, vcc, s18, v62
	v_addc_co_u32_e32 v65, vcc, v65, v63, vcc
	v_mov_b32_e32 v75, s25
	v_add_co_u32_e32 v62, vcc, s24, v62
	v_addc_co_u32_e32 v63, vcc, v75, v63, vcc
	v_mul_f32_e32 v75, v67, v67
	v_fmac_f32_e32 v75, v15, v15
	v_div_scale_f32 v76, s[0:1], v75, v75, 1.0
	v_rcp_f32_e32 v77, v76
	v_mul_f32_e32 v13, 0x80000000, v11
	v_add_f32_e32 v11, v11, v11
	v_fmac_f32_e32 v13, 2.0, v9
	v_fmac_f32_e32 v11, 0, v9
	v_fma_f32 v9, -v76, v77, 1.0
	v_fmac_f32_e32 v77, v9, v77
	v_div_scale_f32 v9, vcc, 1.0, v75, 1.0
	v_mul_f32_e32 v78, v9, v77
	v_fma_f32 v79, -v76, v78, v9
	v_fmac_f32_e32 v78, v79, v77
	v_fma_f32 v9, -v76, v78, v9
	v_div_fmas_f32 v9, v9, v77, v78
	global_load_dwordx2 v[76:77], v[64:65], off
	v_add_u32_e32 v78, s11, v73
	v_ashrrev_i32_e32 v79, 31, v78
	v_div_fixup_f32 v80, v7, v3, 1.0
	v_div_fixup_f32 v3, v9, v75, 1.0
	v_lshlrev_b64 v[78:79], 3, v[78:79]
	v_pk_mul_f32 v[74:75], v[74:75], v[44:45] op_sel:[0,1] op_sel_hi:[0,0] neg_hi:[0,1]
	v_mul_f32_e32 v81, v67, v11
	v_mov_b32_e32 v7, s13
	v_pk_fma_f32 v[44:45], v[44:45], v[66:67], v[74:75] op_sel_hi:[1,0,1]
	v_add_co_u32_e32 v66, vcc, s12, v78
	v_fmac_f32_e32 v81, v13, v15
	v_mul_f32_e64 v13, v67, -v13
	v_addc_co_u32_e32 v67, vcc, v7, v79, vcc
	v_add_co_u32_e32 v74, vcc, s12, v46
	v_addc_co_u32_e32 v75, vcc, v7, v47, vcc
	v_mov_b32_e32 v7, s7
	v_add_co_u32_e32 v82, vcc, s6, v78
	v_pk_mul_f32 v[60:61], v[60:61], v[80:81] op_sel_hi:[1,0]
	v_addc_co_u32_e32 v83, vcc, v7, v79, vcc
	v_mul_f32_e32 v84, v3, v81
	v_pk_mul_f32 v[80:81], v[44:45], v[80:81] op_sel_hi:[1,0]
	global_load_dwordx2 v[88:89], v[82:83], off
	v_pk_fma_f32 v[44:45], v[80:81], v[54:55], v[52:53]
	v_pk_fma_f32 v[46:47], v[80:81], v[58:59], v[44:45] op_sel:[1,0,0] op_sel_hi:[0,1,1] neg_lo:[1,0,0]
	v_fmac_f32_e32 v13, v11, v15
	v_xor_b32_e32 v44, 0x80000000, v61
	v_pk_fma_f32 v[48:49], v[60:61], v[48:49], v[46:47]
	v_mov_b32_e32 v45, v60
	v_mul_f32_e32 v86, v13, v3
	v_pk_fma_f32 v[48:49], v[44:45], v[56:57], v[48:49]
	v_pk_mul_f32 v[54:55], v[86:87], v[48:49] op_sel:[0,1] op_sel_hi:[0,0] neg_lo:[0,1]
	v_pk_fma_f32 v[48:49], v[48:49], v[84:85], v[54:55] op_sel_hi:[1,0,1]
	global_load_dwordx2 v[54:55], v[66:67], off
	global_load_dwordx2 v[58:59], v[74:75], off
	v_fma_f32 v9, v81, v80, 0
	v_fma_f32 v7, v80, v80, 1.0
	v_fmac_f32_e32 v9, v80, v81
	v_fmac_f32_e32 v9, v61, v60
	v_fma_f32 v7, -v81, v81, v7
	v_fmac_f32_e32 v9, v60, v61
	v_fmac_f32_e32 v7, v60, v60
	v_pk_add_f32 v[48:49], v[52:53], v[48:49] neg_lo:[0,1] neg_hi:[0,1]
	v_mul_f32_e32 v11, v9, v9
	v_fma_f32 v7, -v61, v61, v7
	global_store_dwordx2 v[50:51], v[48:49], off
	v_fmac_f32_e32 v11, v7, v7
	v_div_scale_f32 v13, s[0:1], v11, v11, 1.0
	v_mov_b32_e32 v3, s15
	v_add_co_u32_e32 v56, vcc, s14, v78
	v_addc_co_u32_e32 v57, vcc, v3, v79, vcc
	v_mov_b32_e32 v47, v60
	s_waitcnt vmcnt(4)
	v_pk_fma_f32 v[48:49], v[80:81], v[32:33], v[76:77] op_sel_hi:[1,0,1]
	v_pk_fma_f32 v[48:49], v[80:81], v[32:33], v[48:49] op_sel:[1,1,0] op_sel_hi:[0,1,1] neg_lo:[1,0,0]
	v_pk_fma_f32 v[48:49], v[60:61], v[14:15], v[48:49] op_sel_hi:[1,0,1]
	v_rcp_f32_e32 v15, v13
	v_pk_fma_f32 v[48:49], v[44:45], v[34:35], v[48:49] op_sel_hi:[1,0,1]
	v_pk_mul_f32 v[50:51], v[86:87], v[48:49] op_sel:[0,1] op_sel_hi:[0,0] neg_lo:[0,1]
	v_pk_fma_f32 v[50:51], v[48:49], v[84:85], v[50:51] op_sel_hi:[1,0,1]
	v_fma_f32 v3, -v13, v15, 1.0
	v_fmac_f32_e32 v15, v3, v15
	v_div_scale_f32 v3, vcc, 1.0, v11, 1.0
	v_pk_add_f32 v[48:49], v[76:77], v[50:51] neg_lo:[0,1] neg_hi:[0,1]
	v_mul_f32_e32 v46, v3, v15
	global_store_dwordx2 v[64:65], v[48:49], off
	v_fma_f32 v48, -v13, v46, v3
	v_fmac_f32_e32 v46, v48, v15
	v_fma_f32 v3, -v13, v46, v3
	v_div_fmas_f32 v3, v3, v15, v46
	v_mul_f32_e32 v13, 0, v9
	v_mul_f32_e32 v9, -2.0, v9
	v_div_fixup_f32 v3, v3, v11, 1.0
	v_fmac_f32_e32 v9, 0, v7
	v_fmac_f32_e32 v13, 2.0, v7
	v_mul_f32_e32 v52, v9, v3
	v_mul_f32_e32 v46, v13, v3
	v_pk_fma_f32 v[32:33], v[50:51], v[80:81], v[32:33] op_sel_hi:[1,0,1] neg_lo:[1,0,0] neg_hi:[1,0,0]
	v_pk_fma_f32 v[32:33], v[50:51], v[80:81], v[32:33] op_sel:[1,1,0] op_sel_hi:[0,1,1] neg_hi:[1,0,0]
	s_andn2_b64 vcc, exec, s[26:27]
	s_waitcnt vmcnt(4)
	v_pk_fma_f32 v[48:49], v[80:81], v[22:23], v[88:89] op_sel_hi:[1,0,1]
	v_pk_fma_f32 v[48:49], v[80:81], v[22:23], v[48:49] op_sel:[1,1,0] op_sel_hi:[0,1,1] neg_lo:[1,0,0]
	v_pk_fma_f32 v[48:49], v[60:61], v[4:5], v[48:49] op_sel_hi:[1,0,1]
	v_pk_fma_f32 v[48:49], v[44:45], v[42:43], v[48:49] op_sel_hi:[1,0,1]
	v_pk_mul_f32 v[52:53], v[52:53], v[48:49] op_sel:[0,1] op_sel_hi:[0,0] neg_lo:[0,1]
	v_pk_fma_f32 v[48:49], v[48:49], v[46:47], v[52:53] op_sel_hi:[1,0,1]
	v_pk_add_f32 v[76:77], v[88:89], v[48:49] neg_lo:[0,1] neg_hi:[0,1]
	s_waitcnt vmcnt(3)
	v_pk_fma_f32 v[52:53], v[80:81], v[30:31], v[54:55] op_sel_hi:[1,0,1]
	v_pk_fma_f32 v[52:53], v[80:81], v[30:31], v[52:53] op_sel:[1,1,0] op_sel_hi:[0,1,1] neg_lo:[1,0,0]
	v_pk_fma_f32 v[52:53], v[60:61], v[10:11], v[52:53] op_sel_hi:[1,0,1]
	v_pk_fma_f32 v[52:53], v[44:45], v[38:39], v[52:53] op_sel_hi:[1,0,1]
	v_pk_mul_f32 v[64:65], v[86:87], v[52:53] op_sel:[0,1] op_sel_hi:[0,0] neg_lo:[0,1]
	v_pk_fma_f32 v[52:53], v[52:53], v[84:85], v[64:65] op_sel_hi:[1,0,1]
	global_load_dwordx2 v[64:65], v[62:63], off
	v_pk_add_f32 v[54:55], v[54:55], v[52:53] neg_lo:[0,1] neg_hi:[0,1]
	global_store_dwordx2 v[66:67], v[54:55], off
	global_load_dwordx2 v[54:55], v[56:57], off
	s_nop 0
	global_load_dwordx2 v[66:67], v[74:75], off
	s_nop 0
	global_store_dwordx2 v[28:29], v[80:81], off
	global_store_dwordx2 v[24:25], v[32:33], off
	;; [unrolled: 1-line block ×3, first 2 shown]
	s_waitcnt vmcnt(6)
	v_pk_fma_f32 v[28:29], v[80:81], v[26:27], v[64:65] op_sel_hi:[1,0,1]
	v_pk_fma_f32 v[24:25], v[80:81], v[26:27], v[28:29] op_sel:[1,1,0] op_sel_hi:[0,1,1] neg_lo:[1,0,0]
	v_pk_fma_f32 v[24:25], v[60:61], v[12:13], v[24:25] op_sel_hi:[1,0,1]
	v_pk_fma_f32 v[24:25], v[44:45], v[36:37], v[24:25] op_sel_hi:[1,0,1]
	v_pk_mul_f32 v[28:29], v[86:87], v[24:25] op_sel:[0,1] op_sel_hi:[0,0] neg_lo:[0,1]
	v_pk_fma_f32 v[24:25], v[24:25], v[84:85], v[28:29] op_sel_hi:[1,0,1]
	v_pk_fma_f32 v[26:27], v[24:25], v[80:81], v[26:27] op_sel_hi:[1,0,1] neg_lo:[1,0,0] neg_hi:[1,0,0]
	v_pk_fma_f32 v[26:27], v[24:25], v[80:81], v[26:27] op_sel:[1,1,0] op_sel_hi:[0,1,1] neg_hi:[1,0,0]
	global_store_dwordx2 v[18:19], v[26:27], off
	v_pk_fma_f32 v[18:19], v[52:53], v[80:81], v[30:31] op_sel_hi:[1,0,1] neg_lo:[1,0,0] neg_hi:[1,0,0]
	s_waitcnt vmcnt(5)
	v_pk_fma_f32 v[76:77], v[80:81], v[58:59], v[54:55] op_sel_hi:[1,0,1]
	v_pk_add_f32 v[28:29], v[64:65], v[24:25] neg_lo:[0,1] neg_hi:[0,1]
	v_pk_fma_f32 v[18:19], v[52:53], v[80:81], v[18:19] op_sel:[1,1,0] op_sel_hi:[0,1,1] neg_hi:[1,0,0]
	global_store_dwordx2 v[62:63], v[28:29], off
	global_store_dwordx2 v[20:21], v[18:19], off
	v_pk_fma_f32 v[18:19], v[80:81], v[58:59], v[76:77] op_sel:[1,1,0] op_sel_hi:[0,1,1] neg_lo:[1,0,0]
	v_pk_fma_f32 v[18:19], v[60:61], v[8:9], v[18:19] op_sel_hi:[1,0,1]
	v_pk_fma_f32 v[18:19], v[44:45], v[40:41], v[18:19] op_sel_hi:[1,0,1]
	v_pk_mul_f32 v[20:21], v[86:87], v[18:19] op_sel:[0,1] op_sel_hi:[0,0] neg_lo:[0,1]
	v_pk_fma_f32 v[18:19], v[18:19], v[84:85], v[20:21] op_sel_hi:[1,0,1]
	v_pk_add_f32 v[20:21], v[54:55], v[18:19] neg_lo:[0,1] neg_hi:[0,1]
	global_store_dwordx2 v[56:57], v[20:21], off
	s_waitcnt vmcnt(7)
	v_pk_fma_f32 v[20:21], v[18:19], v[80:81], v[66:67] op_sel_hi:[1,0,1] neg_lo:[1,0,0] neg_hi:[1,0,0]
	v_pk_fma_f32 v[20:21], v[18:19], v[80:81], v[20:21] op_sel:[1,1,0] op_sel_hi:[0,1,1] neg_hi:[1,0,0]
	global_store_dwordx2 v[74:75], v[20:21], off
	v_pk_fma_f32 v[20:21], v[80:81], v[48:49], v[22:23] op_sel_hi:[1,0,1] neg_lo:[1,0,0] neg_hi:[1,0,0]
	v_pk_fma_f32 v[20:21], v[80:81], v[48:49], v[20:21] op_sel:[1,1,0] op_sel_hi:[0,1,1] neg_hi:[1,0,0]
	global_store_dwordx2 v[16:17], v[20:21], off
	s_cbranch_vccnz .LBB7_3
; %bb.14:                               ;   in Loop: Header=BB7_4 Depth=1
	v_ashrrev_i32_e32 v7, 31, v6
	v_lshlrev_b64 v[6:7], 3, v[6:7]
	v_mov_b32_e32 v3, s21
	v_add_co_u32_e32 v30, vcc, s20, v6
	v_mov_b32_e32 v46, v60
	v_mov_b32_e32 v15, v34
	v_addc_co_u32_e32 v31, vcc, v3, v7, vcc
	v_xor_b32_e32 v17, 0x80000000, v50
	v_mov_b32_e32 v16, v51
	global_store_dwordx2 v[30:31], v[60:61], off
	v_mov_b32_e32 v3, s23
	v_add_co_u32_e32 v30, vcc, s22, v6
	v_pk_fma_f32 v[14:15], v[50:51], v[46:47], v[14:15] neg_lo:[1,0,0] neg_hi:[1,0,0]
	v_mov_b32_e32 v13, v36
	v_addc_co_u32_e32 v31, vcc, v3, v7, vcc
	v_pk_fma_f32 v[14:15], v[16:17], v[60:61], v[14:15] op_sel:[0,1,0]
	v_xor_b32_e32 v21, 0x80000000, v24
	v_mov_b32_e32 v20, v25
	global_store_dwordx2 v[30:31], v[14:15], off
	v_mov_b32_e32 v3, s17
	v_add_co_u32_e32 v14, vcc, s16, v6
	v_pk_fma_f32 v[12:13], v[24:25], v[46:47], v[12:13] neg_lo:[1,0,0] neg_hi:[1,0,0]
	v_addc_co_u32_e32 v15, vcc, v3, v7, vcc
	v_pk_fma_f32 v[12:13], v[20:21], v[60:61], v[12:13] op_sel:[0,1,0]
	global_store_dwordx2 v[14:15], v[12:13], off
	v_mov_b32_e32 v3, s19
	v_add_co_u32_e32 v12, vcc, s18, v6
	v_addc_co_u32_e32 v13, vcc, v3, v7, vcc
	v_mov_b32_e32 v9, v40
	v_mov_b32_e32 v3, s25
	v_add_co_u32_e32 v6, vcc, s24, v6
	v_xor_b32_e32 v27, 0x80000000, v18
	v_mov_b32_e32 v26, v19
	v_addc_co_u32_e32 v7, vcc, v3, v7, vcc
	v_pk_fma_f32 v[8:9], v[18:19], v[46:47], v[8:9] neg_lo:[1,0,0] neg_hi:[1,0,0]
	v_ashrrev_i32_e32 v3, 31, v2
	v_pk_fma_f32 v[8:9], v[26:27], v[60:61], v[8:9] op_sel:[0,1,0]
	v_lshlrev_b64 v[2:3], 3, v[2:3]
	global_store_dwordx2 v[6:7], v[8:9], off
	v_mov_b32_e32 v7, s7
	v_add_co_u32_e32 v2, vcc, s6, v2
	v_mov_b32_e32 v5, v42
	v_mov_b32_e32 v11, v38
	;; [unrolled: 1-line block ×4, first 2 shown]
	v_xor_b32_e32 v6, 0x80000000, v60
	v_addc_co_u32_e32 v3, vcc, v7, v3, vcc
	v_mov_b32_e32 v7, v44
	v_xor_b32_e32 v23, 0x80000000, v52
	v_mov_b32_e32 v22, v53
	v_mov_b32_e32 v48, v49
	;; [unrolled: 1-line block ×3, first 2 shown]
	v_pk_fma_f32 v[10:11], v[52:53], v[46:47], v[10:11] neg_lo:[1,0,0] neg_hi:[1,0,0]
	v_pk_fma_f32 v[4:5], v[6:7], v[28:29], v[4:5]
	v_mov_b32_e32 v33, v6
	v_pk_fma_f32 v[10:11], v[22:23], v[60:61], v[10:11] op_sel:[0,1,0]
	v_pk_fma_f32 v[4:5], v[32:33], v[48:49], v[4:5]
	global_store_dwordx2 v[12:13], v[10:11], off
	global_store_dwordx2 v[2:3], v[4:5], off
	s_branch .LBB7_3
.LBB7_15:
	s_cmp_lt_i32 s8, 1
	s_cbranch_scc1 .LBB7_28
; %bb.16:
	s_mul_i32 s2, s9, s33
	v_add_u32_e32 v6, s2, v0
	s_add_i32 s2, s8, 3
	s_mul_i32 s2, s10, s2
	v_add_u32_e32 v7, s2, v0
	s_add_i32 s2, s8, 2
	s_mul_i32 s2, s10, s2
	s_load_dwordx2 s[0:1], s[4:5], 0x38
	v_add_u32_e32 v8, s2, v0
	s_add_i32 s2, s8, 1
	s_mul_i32 s2, s10, s2
	v_add_u32_e32 v9, s2, v0
	s_mul_i32 s2, s10, s8
	v_add_u32_e32 v10, s2, v0
	;; [unrolled: 2-line block ×3, first 2 shown]
	s_mov_b32 s2, 0
	s_mov_b32 s20, s8
	s_branch .LBB7_18
.LBB7_17:                               ;   in Loop: Header=BB7_18 Depth=1
	s_waitcnt lgkmcnt(0)
	v_mov_b32_e32 v12, s7
	v_add_co_u32_e32 v4, vcc, s6, v4
	v_addc_co_u32_e32 v5, vcc, v12, v5, vcc
	v_lshlrev_b64 v[2:3], 3, v[2:3]
	v_mov_b32_e32 v13, s17
	v_add_co_u32_e32 v12, vcc, s16, v2
	v_addc_co_u32_e32 v13, vcc, v13, v3, vcc
	global_load_dwordx2 v[14:15], v[12:13], off
	global_load_dwordx2 v[16:17], v[4:5], off
	v_mov_b32_e32 v4, s1
	v_add_co_u32_e32 v2, vcc, s0, v2
	v_addc_co_u32_e32 v3, vcc, v4, v3, vcc
	s_add_i32 s20, s20, -1
	v_subrev_u32_e32 v6, s9, v6
	v_subrev_u32_e32 v7, s10, v7
	;; [unrolled: 1-line block ×5, first 2 shown]
	s_cmp_gt_i32 s20, 0
	v_subrev_u32_e32 v11, s10, v11
	s_waitcnt vmcnt(1)
	v_mul_f32_e32 v12, v15, v15
	v_fmac_f32_e32 v12, v14, v14
	v_div_scale_f32 v13, s[4:5], v12, v12, 1.0
	s_waitcnt vmcnt(0)
	v_pk_add_f32 v[0:1], v[16:17], v[0:1] neg_lo:[0,1] neg_hi:[0,1]
	v_rcp_f32_e32 v16, v13
	v_pk_mul_f32 v[4:5], v[14:15], v[0:1] op_sel:[1,1] op_sel_hi:[1,0] neg_hi:[0,1]
	v_pk_fma_f32 v[0:1], v[0:1], v[14:15], v[4:5] op_sel_hi:[1,0,1]
	v_div_scale_f32 v17, vcc, 1.0, v12, 1.0
	v_fma_f32 v4, -v13, v16, 1.0
	v_fmac_f32_e32 v16, v4, v16
	v_mul_f32_e32 v4, v17, v16
	v_fma_f32 v5, -v13, v4, v17
	v_fmac_f32_e32 v4, v5, v16
	v_fma_f32 v5, -v13, v4, v17
	v_div_fmas_f32 v4, v5, v16, v4
	v_div_fixup_f32 v4, v4, v12, 1.0
	v_pk_mul_f32 v[0:1], v[4:5], v[0:1] op_sel_hi:[0,1]
	global_store_dwordx2 v[2:3], v[0:1], off
	s_cbranch_scc0 .LBB7_28
.LBB7_18:                               ; =>This Inner Loop Header: Depth=1
	v_add_u32_e32 v2, s11, v11
	s_mov_b32 s3, s2
	s_cmp_ge_i32 s20, s8
	v_pk_mov_b32 v[0:1], s[2:3], s[2:3] op_sel:[0,1]
	v_ashrrev_i32_e32 v3, 31, v2
	s_cbranch_scc1 .LBB7_20
; %bb.19:                               ;   in Loop: Header=BB7_18 Depth=1
	v_lshlrev_b64 v[0:1], 3, v[2:3]
	s_waitcnt lgkmcnt(0)
	v_mov_b32_e32 v4, s19
	v_add_co_u32_e32 v0, vcc, s18, v0
	v_addc_co_u32_e32 v1, vcc, v4, v1, vcc
	v_add_u32_e32 v4, s11, v10
	v_ashrrev_i32_e32 v5, 31, v4
	v_lshlrev_b64 v[4:5], 3, v[4:5]
	v_mov_b32_e32 v12, s1
	v_add_co_u32_e32 v4, vcc, s0, v4
	v_addc_co_u32_e32 v5, vcc, v12, v5, vcc
	global_load_dwordx2 v[12:13], v[0:1], off
	global_load_dwordx2 v[14:15], v[4:5], off
	s_waitcnt vmcnt(0)
	v_pk_mul_f32 v[0:1], v[14:15], v[12:13] op_sel:[1,1] op_sel_hi:[1,0] neg_lo:[0,1]
	v_pk_fma_f32 v[0:1], v[12:13], v[14:15], v[0:1] op_sel_hi:[1,0,1]
	v_pk_add_f32 v[0:1], v[0:1], 0 op_sel_hi:[1,0]
.LBB7_20:                               ;   in Loop: Header=BB7_18 Depth=1
	s_add_i32 s3, s20, 1
	s_cmp_ge_i32 s3, s8
	s_cbranch_scc1 .LBB7_22
; %bb.21:                               ;   in Loop: Header=BB7_18 Depth=1
	v_lshlrev_b64 v[4:5], 3, v[2:3]
	s_waitcnt lgkmcnt(0)
	v_mov_b32_e32 v12, s25
	v_add_co_u32_e32 v4, vcc, s24, v4
	v_addc_co_u32_e32 v5, vcc, v12, v5, vcc
	v_add_u32_e32 v12, s11, v9
	v_ashrrev_i32_e32 v13, 31, v12
	v_lshlrev_b64 v[12:13], 3, v[12:13]
	v_mov_b32_e32 v14, s1
	v_add_co_u32_e32 v12, vcc, s0, v12
	v_addc_co_u32_e32 v13, vcc, v14, v13, vcc
	global_load_dwordx2 v[14:15], v[4:5], off
	global_load_dwordx2 v[16:17], v[12:13], off
	s_waitcnt vmcnt(0)
	v_pk_mul_f32 v[4:5], v[16:17], v[14:15] op_sel:[1,1] op_sel_hi:[1,0] neg_lo:[0,1]
	v_pk_fma_f32 v[4:5], v[14:15], v[16:17], v[4:5] op_sel_hi:[1,0,1]
	v_pk_add_f32 v[0:1], v[0:1], v[4:5]
.LBB7_22:                               ;   in Loop: Header=BB7_18 Depth=1
	v_add_u32_e32 v4, s11, v6
	s_add_i32 s3, s20, 2
	s_cmp_lt_i32 s3, s8
	v_ashrrev_i32_e32 v5, 31, v4
	s_cbranch_scc1 .LBB7_27
; %bb.23:                               ;   in Loop: Header=BB7_18 Depth=1
	s_cbranch_execnz .LBB7_25
.LBB7_24:                               ;   in Loop: Header=BB7_18 Depth=1
	v_lshlrev_b64 v[12:13], 3, v[4:5]
	s_waitcnt lgkmcnt(0)
	v_mov_b32_e32 v14, s13
	v_add_co_u32_e32 v12, vcc, s12, v12
	v_addc_co_u32_e32 v13, vcc, v14, v13, vcc
	v_add_u32_e32 v14, s11, v8
	v_ashrrev_i32_e32 v15, 31, v14
	v_lshlrev_b64 v[14:15], 3, v[14:15]
	v_mov_b32_e32 v16, s1
	v_add_co_u32_e32 v14, vcc, s0, v14
	v_addc_co_u32_e32 v15, vcc, v16, v15, vcc
	global_load_dwordx2 v[16:17], v[12:13], off
	global_load_dwordx2 v[18:19], v[14:15], off
	s_waitcnt vmcnt(0)
	v_pk_mul_f32 v[12:13], v[18:19], v[16:17] op_sel:[1,1] op_sel_hi:[1,0] neg_lo:[0,1]
	v_pk_fma_f32 v[12:13], v[16:17], v[18:19], v[12:13] op_sel_hi:[1,0,1]
	v_pk_add_f32 v[0:1], v[0:1], v[12:13]
.LBB7_25:                               ;   in Loop: Header=BB7_18 Depth=1
	s_add_i32 s3, s20, 3
	s_cmp_ge_i32 s3, s8
	v_lshlrev_b64 v[4:5], 3, v[4:5]
	s_cbranch_scc1 .LBB7_17
; %bb.26:                               ;   in Loop: Header=BB7_18 Depth=1
	v_add_u32_e32 v14, s11, v7
	s_waitcnt lgkmcnt(0)
	v_mov_b32_e32 v13, s15
	v_add_co_u32_e32 v12, vcc, s14, v4
	v_ashrrev_i32_e32 v15, 31, v14
	v_addc_co_u32_e32 v13, vcc, v13, v5, vcc
	v_lshlrev_b64 v[14:15], 3, v[14:15]
	v_mov_b32_e32 v16, s1
	v_add_co_u32_e32 v14, vcc, s0, v14
	v_addc_co_u32_e32 v15, vcc, v16, v15, vcc
	global_load_dwordx2 v[16:17], v[12:13], off
	global_load_dwordx2 v[18:19], v[14:15], off
	s_waitcnt vmcnt(0)
	v_pk_mul_f32 v[12:13], v[18:19], v[16:17] op_sel:[1,1] op_sel_hi:[1,0] neg_lo:[0,1]
	v_pk_fma_f32 v[12:13], v[16:17], v[18:19], v[12:13] op_sel_hi:[1,0,1]
	v_pk_add_f32 v[0:1], v[0:1], v[12:13]
	s_branch .LBB7_17
.LBB7_27:                               ;   in Loop: Header=BB7_18 Depth=1
	s_branch .LBB7_24
.LBB7_28:
	s_endpgm
	.section	.rodata,"a",@progbits
	.p2align	6, 0x0
	.amdhsa_kernel _ZN9rocsparseL44gpsv_interleaved_batch_householder_qr_kernelILj256E21rocsparse_complex_numIfEEEviiiPT0_S4_S4_S4_S4_S4_S4_S4_S4_
		.amdhsa_group_segment_fixed_size 0
		.amdhsa_private_segment_fixed_size 0
		.amdhsa_kernarg_size 344
		.amdhsa_user_sgpr_count 6
		.amdhsa_user_sgpr_private_segment_buffer 1
		.amdhsa_user_sgpr_dispatch_ptr 0
		.amdhsa_user_sgpr_queue_ptr 0
		.amdhsa_user_sgpr_kernarg_segment_ptr 1
		.amdhsa_user_sgpr_dispatch_id 0
		.amdhsa_user_sgpr_flat_scratch_init 0
		.amdhsa_user_sgpr_kernarg_preload_length 0
		.amdhsa_user_sgpr_kernarg_preload_offset 0
		.amdhsa_user_sgpr_private_segment_size 0
		.amdhsa_uses_dynamic_stack 0
		.amdhsa_system_sgpr_private_segment_wavefront_offset 0
		.amdhsa_system_sgpr_workgroup_id_x 1
		.amdhsa_system_sgpr_workgroup_id_y 0
		.amdhsa_system_sgpr_workgroup_id_z 0
		.amdhsa_system_sgpr_workgroup_info 0
		.amdhsa_system_vgpr_workitem_id 0
		.amdhsa_next_free_vgpr 90
		.amdhsa_next_free_sgpr 38
		.amdhsa_accum_offset 92
		.amdhsa_reserve_vcc 1
		.amdhsa_reserve_flat_scratch 0
		.amdhsa_float_round_mode_32 0
		.amdhsa_float_round_mode_16_64 0
		.amdhsa_float_denorm_mode_32 3
		.amdhsa_float_denorm_mode_16_64 3
		.amdhsa_dx10_clamp 1
		.amdhsa_ieee_mode 1
		.amdhsa_fp16_overflow 0
		.amdhsa_tg_split 0
		.amdhsa_exception_fp_ieee_invalid_op 0
		.amdhsa_exception_fp_denorm_src 0
		.amdhsa_exception_fp_ieee_div_zero 0
		.amdhsa_exception_fp_ieee_overflow 0
		.amdhsa_exception_fp_ieee_underflow 0
		.amdhsa_exception_fp_ieee_inexact 0
		.amdhsa_exception_int_div_zero 0
	.end_amdhsa_kernel
	.section	.text._ZN9rocsparseL44gpsv_interleaved_batch_householder_qr_kernelILj256E21rocsparse_complex_numIfEEEviiiPT0_S4_S4_S4_S4_S4_S4_S4_S4_,"axG",@progbits,_ZN9rocsparseL44gpsv_interleaved_batch_householder_qr_kernelILj256E21rocsparse_complex_numIfEEEviiiPT0_S4_S4_S4_S4_S4_S4_S4_S4_,comdat
.Lfunc_end7:
	.size	_ZN9rocsparseL44gpsv_interleaved_batch_householder_qr_kernelILj256E21rocsparse_complex_numIfEEEviiiPT0_S4_S4_S4_S4_S4_S4_S4_S4_, .Lfunc_end7-_ZN9rocsparseL44gpsv_interleaved_batch_householder_qr_kernelILj256E21rocsparse_complex_numIfEEEviiiPT0_S4_S4_S4_S4_S4_S4_S4_S4_
                                        ; -- End function
	.section	.AMDGPU.csdata,"",@progbits
; Kernel info:
; codeLenInByte = 3712
; NumSgprs: 42
; NumVgprs: 90
; NumAgprs: 0
; TotalNumVgprs: 90
; ScratchSize: 0
; MemoryBound: 0
; FloatMode: 240
; IeeeMode: 1
; LDSByteSize: 0 bytes/workgroup (compile time only)
; SGPRBlocks: 5
; VGPRBlocks: 11
; NumSGPRsForWavesPerEU: 42
; NumVGPRsForWavesPerEU: 90
; AccumOffset: 92
; Occupancy: 5
; WaveLimiterHint : 0
; COMPUTE_PGM_RSRC2:SCRATCH_EN: 0
; COMPUTE_PGM_RSRC2:USER_SGPR: 6
; COMPUTE_PGM_RSRC2:TRAP_HANDLER: 0
; COMPUTE_PGM_RSRC2:TGID_X_EN: 1
; COMPUTE_PGM_RSRC2:TGID_Y_EN: 0
; COMPUTE_PGM_RSRC2:TGID_Z_EN: 0
; COMPUTE_PGM_RSRC2:TIDIG_COMP_CNT: 0
; COMPUTE_PGM_RSRC3_GFX90A:ACCUM_OFFSET: 22
; COMPUTE_PGM_RSRC3_GFX90A:TG_SPLIT: 0
	.section	.text._ZN9rocsparseL39gpsv_interleaved_batch_givens_qr_kernelILj128E21rocsparse_complex_numIfEEEviiiPT0_S4_S4_S4_S4_S4_S4_S4_,"axG",@progbits,_ZN9rocsparseL39gpsv_interleaved_batch_givens_qr_kernelILj128E21rocsparse_complex_numIfEEEviiiPT0_S4_S4_S4_S4_S4_S4_S4_,comdat
	.globl	_ZN9rocsparseL39gpsv_interleaved_batch_givens_qr_kernelILj128E21rocsparse_complex_numIfEEEviiiPT0_S4_S4_S4_S4_S4_S4_S4_ ; -- Begin function _ZN9rocsparseL39gpsv_interleaved_batch_givens_qr_kernelILj128E21rocsparse_complex_numIfEEEviiiPT0_S4_S4_S4_S4_S4_S4_S4_
	.p2align	8
	.type	_ZN9rocsparseL39gpsv_interleaved_batch_givens_qr_kernelILj128E21rocsparse_complex_numIfEEEviiiPT0_S4_S4_S4_S4_S4_S4_S4_,@function
_ZN9rocsparseL39gpsv_interleaved_batch_givens_qr_kernelILj128E21rocsparse_complex_numIfEEEviiiPT0_S4_S4_S4_S4_S4_S4_S4_: ; @_ZN9rocsparseL39gpsv_interleaved_batch_givens_qr_kernelILj128E21rocsparse_complex_numIfEEEviiiPT0_S4_S4_S4_S4_S4_S4_S4_
; %bb.0:
	s_load_dwordx4 s[16:19], s[4:5], 0x0
	s_waitcnt lgkmcnt(0)
	s_lshl_b32 s19, s6, 7
	v_or_b32_e32 v1, s19, v0
	v_cmp_gt_i32_e32 vcc, s17, v1
	s_and_saveexec_b64 s[0:1], vcc
	s_cbranch_execz .LBB8_25
; %bb.1:
	s_load_dwordx2 s[2:3], s[4:5], 0x48
	s_load_dwordx4 s[20:23], s[4:5], 0x38
	s_load_dwordx8 s[8:15], s[4:5], 0x18
	s_add_i32 s26, s16, -2
	s_cmp_lt_i32 s16, 3
	s_cbranch_scc1 .LBB8_16
; %bb.2:
	s_load_dwordx2 s[4:5], s[4:5], 0x10
	s_lshl_b32 s27, s18, 1
	s_waitcnt lgkmcnt(0)
	v_mov_b32_e32 v55, s9
	v_mov_b32_e32 v57, s11
	;; [unrolled: 1-line block ×5, first 2 shown]
	s_mov_b32 s5, 0xf800000
	v_mov_b32_e32 v63, 0x260
	v_mov_b32_e32 v16, v1
	s_mov_b32 s28, s26
	v_mov_b32_e32 v30, v1
	s_branch .LBB8_4
.LBB8_3:                                ;   in Loop: Header=BB8_4 Depth=1
	s_or_b64 exec, exec, s[6:7]
	v_mul_f32_e32 v3, 0x4f800000, v14
	v_cmp_gt_f32_e32 vcc, s5, v14
	v_cndmask_b32_e32 v3, v14, v3, vcc
	v_sqrt_f32_e32 v13, v3
	v_mov_b32_e32 v19, s3
	v_xor_b32_e32 v64, 0x80000000, v43
	v_mov_b32_e32 v65, v42
	v_add_u32_e32 v14, -1, v13
	v_fma_f32 v18, -v14, v13, v3
	v_add_u32_e32 v15, 1, v13
	v_cmp_ge_f32_e64 s[0:1], 0, v18
	v_cndmask_b32_e64 v14, v13, v14, s[0:1]
	v_fma_f32 v13, -v15, v13, v3
	v_cmp_lt_f32_e64 s[0:1], 0, v13
	v_cndmask_b32_e64 v13, v14, v15, s[0:1]
	v_mul_f32_e32 v14, 0x37800000, v13
	v_cndmask_b32_e32 v13, v13, v14, vcc
	v_cmp_class_f32_e32 vcc, v3, v63
	v_cndmask_b32_e32 v3, v13, v3, vcc
	global_load_dwordx2 v[14:15], v[10:11], off
	v_add_co_u32_e32 v18, vcc, s2, v32
	v_addc_co_u32_e32 v19, vcc, v19, v33, vcc
	global_load_dwordx2 v[20:21], v[18:19], off
	v_fma_f32 v13, v3, v3, 0
	v_div_scale_f32 v22, s[0:1], v13, v13, 1.0
	v_rcp_f32_e32 v23, v22
	s_add_i32 s28, s28, -1
	s_cmp_eq_u32 s28, 0
	v_fma_f32 v32, -v22, v23, 1.0
	v_fmac_f32_e32 v23, v32, v23
	v_div_scale_f32 v32, vcc, 1.0, v13, 1.0
	v_mul_f32_e32 v33, v32, v23
	v_fma_f32 v54, -v22, v33, v32
	v_fmac_f32_e32 v33, v54, v23
	v_fma_f32 v22, -v22, v33, v32
	v_div_fmas_f32 v22, v22, v23, v33
	v_mul_f32_e32 v23, 0x80000000, v46
	v_div_fixup_f32 v13, v22, v13, 1.0
	v_fma_f32 v23, -v47, v3, v23
	v_mul_f32_e32 v54, v23, v13
	v_mul_f32_e32 v23, 0x80000000, v43
	v_fmac_f32_e32 v23, v42, v3
	v_mul_f32_e32 v22, 0x80000000, v47
	v_mul_f32_e32 v56, v23, v13
	;; [unrolled: 1-line block ×3, first 2 shown]
	v_fmac_f32_e32 v22, v46, v3
	v_fma_f32 v3, -v43, v3, v23
	v_mul_f32_e32 v58, v3, v13
	v_pk_mul_f32 v[64:65], v[58:59], v[64:65] op_sel_hi:[0,1]
	v_mul_f32_e32 v22, v22, v13
	v_pk_fma_f32 v[42:43], v[42:43], v[56:57], v[64:65] op_sel_hi:[1,0,1]
	v_xor_b32_e32 v32, 0x80000000, v47
	v_pk_fma_f32 v[42:43], v[46:47], v[22:23], v[42:43] op_sel_hi:[1,0,1]
	v_mov_b32_e32 v33, v46
	v_pk_fma_f32 v[32:33], v[32:33], v[54:55], v[42:43] op_sel_hi:[1,0,1]
	global_store_dwordx2 v[26:27], v[32:33], off
	v_pk_mul_f32 v[26:27], v[38:39], v[54:55] op_sel_hi:[1,0] neg_lo:[0,1]
	v_pk_fma_f32 v[26:27], v[38:39], v[22:23], v[26:27] op_sel:[0,0,1] op_sel_hi:[1,0,0]
	s_waitcnt vmcnt(7)
	v_pk_fma_f32 v[26:27], v[52:53], v[56:57], v[26:27] op_sel_hi:[1,0,1] neg_lo:[1,0,0] neg_hi:[1,0,0]
	v_pk_fma_f32 v[26:27], v[52:53], v[58:59], v[26:27] op_sel:[1,0,0] op_sel_hi:[0,0,1] neg_lo:[0,1,0]
	global_store_dwordx2 v[4:5], v[26:27], off
	v_pk_mul_f32 v[4:5], v[58:59], v[38:39] op_sel:[0,1] op_sel_hi:[0,0] neg_lo:[0,1]
	v_pk_fma_f32 v[4:5], v[38:39], v[56:57], v[4:5] op_sel_hi:[1,0,1]
	v_pk_fma_f32 v[4:5], v[52:53], v[22:23], v[4:5] op_sel_hi:[1,0,1]
	v_pk_fma_f32 v[4:5], v[52:53], v[54:55], v[4:5] op_sel:[1,0,0] op_sel_hi:[0,0,1] neg_lo:[1,0,0]
	global_store_dwordx2 v[24:25], v[4:5], off
	v_pk_mul_f32 v[4:5], v[50:51], v[54:55] op_sel_hi:[1,0] neg_lo:[0,1]
	v_pk_fma_f32 v[4:5], v[50:51], v[22:23], v[4:5] op_sel:[0,0,1] op_sel_hi:[1,0,0]
	s_waitcnt vmcnt(8)
	v_pk_fma_f32 v[4:5], v[34:35], v[56:57], v[4:5] op_sel_hi:[1,0,1] neg_lo:[1,0,0] neg_hi:[1,0,0]
	v_pk_fma_f32 v[4:5], v[34:35], v[58:59], v[4:5] op_sel:[1,0,0] op_sel_hi:[0,0,1] neg_lo:[0,1,0]
	global_store_dwordx2 v[6:7], v[4:5], off
	v_pk_mul_f32 v[4:5], v[58:59], v[50:51] op_sel:[0,1] op_sel_hi:[0,0] neg_lo:[0,1]
	v_pk_fma_f32 v[4:5], v[50:51], v[56:57], v[4:5] op_sel_hi:[1,0,1]
	v_pk_fma_f32 v[4:5], v[34:35], v[22:23], v[4:5] op_sel_hi:[1,0,1]
	v_pk_fma_f32 v[4:5], v[34:35], v[54:55], v[4:5] op_sel:[1,0,0] op_sel_hi:[0,0,1] neg_lo:[1,0,0]
	;; [unrolled: 11-line block ×3, first 2 shown]
	v_pk_mul_f32 v[6:7], v[54:55], v[40:41] op_sel_hi:[0,1] neg_lo:[1,0]
	global_store_dwordx2 v[36:37], v[4:5], off
	v_xor_b32_e32 v4, 0x80000000, v41
	v_pk_fma_f32 v[6:7], v[40:41], v[22:23], v[6:7] op_sel:[0,0,1] op_sel_hi:[1,0,0]
	v_mov_b32_e32 v5, v40
	global_store_dwordx2 v[16:17], v[6:7], off
	v_mov_b32_e32 v3, s23
	v_add_co_u32_e32 v6, vcc, s22, v30
	v_pk_mul_f32 v[4:5], v[58:59], v[4:5] op_sel_hi:[0,1]
	v_addc_co_u32_e32 v7, vcc, v3, v31, vcc
	v_pk_fma_f32 v[4:5], v[40:41], v[56:57], v[4:5] op_sel_hi:[1,0,1]
	global_store_dwordx2 v[6:7], v[4:5], off
	s_waitcnt vmcnt(10)
	v_pk_mul_f32 v[4:5], v[58:59], v[14:15] op_sel:[0,1] op_sel_hi:[0,0] neg_lo:[0,1]
	v_pk_fma_f32 v[4:5], v[14:15], v[56:57], v[4:5] op_sel_hi:[1,0,1]
	s_waitcnt vmcnt(9)
	v_pk_fma_f32 v[4:5], v[20:21], v[22:23], v[4:5] op_sel_hi:[1,0,1]
	v_pk_fma_f32 v[4:5], v[20:21], v[54:55], v[4:5] op_sel:[1,0,0] op_sel_hi:[0,0,1] neg_lo:[1,0,0]
	global_store_dwordx2 v[18:19], v[4:5], off
	v_pk_mul_f32 v[4:5], v[54:55], v[14:15] op_sel_hi:[0,1] neg_lo:[1,0]
	v_pk_fma_f32 v[4:5], v[14:15], v[22:23], v[4:5] op_sel:[0,0,1] op_sel_hi:[1,0,0]
	v_pk_fma_f32 v[4:5], v[20:21], v[56:57], v[4:5] op_sel_hi:[1,0,1] neg_lo:[1,0,0] neg_hi:[1,0,0]
	v_pk_fma_f32 v[4:5], v[20:21], v[58:59], v[4:5] op_sel:[1,0,0] op_sel_hi:[0,0,1] neg_lo:[0,1,0]
	v_mov_b32_e32 v16, v2
	v_mov_b32_e32 v30, v12
	global_store_dwordx2 v[10:11], v[4:5], off
	s_cbranch_scc1 .LBB8_16
.LBB8_4:                                ; =>This Inner Loop Header: Depth=1
	v_add_u32_e32 v4, s27, v16
	v_ashrrev_i32_e32 v5, 31, v4
	v_add_u32_e32 v2, s18, v16
	v_lshlrev_b64 v[10:11], 3, v[4:5]
	v_add_co_u32_e32 v4, vcc, s4, v10
	v_ashrrev_i32_e32 v3, 31, v2
	v_addc_co_u32_e32 v5, vcc, v61, v11, vcc
	v_lshlrev_b64 v[12:13], 3, v[2:3]
	v_add_co_u32_e32 v22, vcc, s8, v12
	v_addc_co_u32_e32 v23, vcc, v55, v13, vcc
	v_add_co_u32_e32 v14, vcc, s8, v10
	v_addc_co_u32_e32 v15, vcc, v55, v11, vcc
	global_load_dwordx2 v[38:39], v[4:5], off
	v_add_co_u32_e32 v4, vcc, s10, v12
	v_addc_co_u32_e32 v5, vcc, v57, v13, vcc
	v_add_co_u32_e32 v44, vcc, s10, v10
	v_addc_co_u32_e32 v45, vcc, v57, v11, vcc
	;; [unrolled: 2-line block ×3, first 2 shown]
	v_add_co_u32_e32 v28, vcc, s12, v10
	global_load_dwordx2 v[42:43], v[22:23], off
	global_load_dwordx2 v[18:19], v[14:15], off
	v_addc_co_u32_e32 v29, vcc, v59, v11, vcc
	v_add_co_u32_e32 v8, vcc, s14, v12
	v_addc_co_u32_e32 v9, vcc, v62, v13, vcc
	v_add_co_u32_e32 v46, vcc, s14, v10
	global_load_dwordx2 v[20:21], v[4:5], off
	global_load_dwordx2 v[40:41], v[44:45], off
	;; [unrolled: 1-line block ×4, first 2 shown]
	v_addc_co_u32_e32 v47, vcc, v62, v11, vcc
	global_load_dwordx2 v[34:35], v[8:9], off
	global_load_dwordx2 v[48:49], v[46:47], off
	s_waitcnt vmcnt(8)
	v_mul_f32_e64 v3, v38, -v39
	v_fmac_f32_e32 v3, v39, v38
	v_mul_f32_e32 v17, v39, v39
	v_fmac_f32_e32 v17, v38, v38
	s_waitcnt vmcnt(7)
	v_fmac_f32_e32 v3, v43, v42
	v_fma_f32 v25, v42, -v43, v3
	v_fmac_f32_e32 v17, v42, v42
	v_cmp_gt_f32_e32 vcc, 0, v25
	v_fmac_f32_e32 v17, v43, v43
	v_cndmask_b32_e64 v24, v25, -v25, vcc
	v_cmp_ngt_f32_e32 vcc, v17, v24
                                        ; implicit-def: $vgpr3
	s_and_saveexec_b64 s[0:1], vcc
	s_xor_b64 s[6:7], exec, s[0:1]
	s_cbranch_execz .LBB8_8
; %bb.5:                                ;   in Loop: Header=BB8_4 Depth=1
	v_cmp_neq_f32_e32 vcc, 0, v25
	v_mov_b32_e32 v3, 0
	s_and_saveexec_b64 s[24:25], vcc
	s_cbranch_execz .LBB8_7
; %bb.6:                                ;   in Loop: Header=BB8_4 Depth=1
	v_div_scale_f32 v3, s[0:1], v24, v24, v17
	v_rcp_f32_e32 v25, v3
	v_div_scale_f32 v26, vcc, v17, v24, v17
	v_fma_f32 v27, -v3, v25, 1.0
	v_fmac_f32_e32 v25, v27, v25
	v_mul_f32_e32 v27, v26, v25
	v_fma_f32 v31, -v3, v27, v26
	v_fmac_f32_e32 v27, v31, v25
	v_fma_f32 v3, -v3, v27, v26
	v_div_fmas_f32 v3, v3, v25, v27
	v_div_fixup_f32 v3, v3, v24, v17
	v_fma_f32 v3, v3, v3, 1.0
	v_mul_f32_e32 v17, 0x4f800000, v3
	v_cmp_gt_f32_e32 vcc, s5, v3
	v_cndmask_b32_e32 v3, v3, v17, vcc
	v_sqrt_f32_e32 v17, v3
	v_add_u32_e32 v25, -1, v17
	v_fma_f32 v26, -v25, v17, v3
	v_cmp_ge_f32_e64 s[0:1], 0, v26
	v_add_u32_e32 v26, 1, v17
	v_cndmask_b32_e64 v25, v17, v25, s[0:1]
	v_fma_f32 v17, -v26, v17, v3
	v_cmp_lt_f32_e64 s[0:1], 0, v17
	v_cndmask_b32_e64 v17, v25, v26, s[0:1]
	v_mul_f32_e32 v25, 0x37800000, v17
	v_cndmask_b32_e32 v17, v17, v25, vcc
	v_cmp_class_f32_e32 vcc, v3, v63
	v_cndmask_b32_e32 v3, v17, v3, vcc
	v_mul_f32_e32 v3, v24, v3
.LBB8_7:                                ;   in Loop: Header=BB8_4 Depth=1
	s_or_b64 exec, exec, s[24:25]
                                        ; implicit-def: $vgpr17
                                        ; implicit-def: $vgpr24
.LBB8_8:                                ;   in Loop: Header=BB8_4 Depth=1
	s_andn2_saveexec_b64 s[6:7], s[6:7]
	s_cbranch_execz .LBB8_10
; %bb.9:                                ;   in Loop: Header=BB8_4 Depth=1
	v_div_scale_f32 v3, s[0:1], v17, v17, v24
	v_rcp_f32_e32 v25, v3
	v_div_scale_f32 v26, vcc, v24, v17, v24
	v_fma_f32 v27, -v3, v25, 1.0
	v_fmac_f32_e32 v25, v27, v25
	v_mul_f32_e32 v27, v26, v25
	v_fma_f32 v31, -v3, v27, v26
	v_fmac_f32_e32 v27, v31, v25
	v_fma_f32 v3, -v3, v27, v26
	v_div_fmas_f32 v3, v3, v25, v27
	v_div_fixup_f32 v3, v3, v17, v24
	v_fma_f32 v3, v3, v3, 1.0
	v_mul_f32_e32 v24, 0x4f800000, v3
	v_cmp_gt_f32_e32 vcc, s5, v3
	v_cndmask_b32_e32 v3, v3, v24, vcc
	v_sqrt_f32_e32 v24, v3
	v_add_u32_e32 v25, -1, v24
	v_fma_f32 v26, -v25, v24, v3
	v_cmp_ge_f32_e64 s[0:1], 0, v26
	v_add_u32_e32 v26, 1, v24
	v_cndmask_b32_e64 v25, v24, v25, s[0:1]
	v_fma_f32 v24, -v26, v24, v3
	v_cmp_lt_f32_e64 s[0:1], 0, v24
	v_cndmask_b32_e64 v24, v25, v26, s[0:1]
	v_mul_f32_e32 v25, 0x37800000, v24
	v_cndmask_b32_e32 v24, v24, v25, vcc
	v_cmp_class_f32_e32 vcc, v3, v63
	v_cndmask_b32_e32 v3, v24, v3, vcc
	v_mul_f32_e32 v3, v17, v3
.LBB8_10:                               ;   in Loop: Header=BB8_4 Depth=1
	s_or_b64 exec, exec, s[6:7]
	v_mov_b32_e32 v17, s3
	v_add_co_u32_e32 v24, vcc, s2, v10
	v_addc_co_u32_e32 v25, vcc, v17, v11, vcc
	global_load_dwordx2 v[26:27], v[24:25], off
	v_add_co_u32_e32 v10, vcc, s2, v12
	v_addc_co_u32_e32 v11, vcc, v17, v13, vcc
	global_load_dwordx2 v[32:33], v[10:11], off
	v_mul_f32_e32 v12, 0x4f800000, v3
	v_cmp_gt_f32_e32 vcc, s5, v3
	v_cndmask_b32_e32 v3, v3, v12, vcc
	v_sqrt_f32_e32 v12, v3
	v_mul_f32_e32 v13, 0x80000000, v43
	v_mul_f32_e32 v17, 0x80000000, v42
	;; [unrolled: 1-line block ×3, first 2 shown]
	v_add_u32_e32 v53, -1, v12
	v_add_u32_e32 v54, 1, v12
	v_fma_f32 v56, -v53, v12, v3
	v_fma_f32 v58, -v54, v12, v3
	v_cmp_ge_f32_e64 s[0:1], 0, v56
	v_cndmask_b32_e64 v12, v12, v53, s[0:1]
	v_cmp_lt_f32_e64 s[0:1], 0, v58
	v_cndmask_b32_e64 v12, v12, v54, s[0:1]
	v_mul_f32_e32 v53, 0x37800000, v12
	v_cndmask_b32_e32 v12, v12, v53, vcc
	v_cmp_class_f32_e32 vcc, v3, v63
	v_cndmask_b32_e32 v3, v12, v3, vcc
	v_fma_f32 v12, v3, v3, 0
	v_div_scale_f32 v53, s[0:1], v12, v12, 1.0
	v_rcp_f32_e32 v54, v53
	v_mul_f32_e32 v52, 0x80000000, v38
	v_fmac_f32_e32 v13, v42, v3
	v_fma_f32 v17, -v43, v3, v17
	v_fma_f32 v56, -v53, v54, 1.0
	v_fmac_f32_e32 v31, v38, v3
	v_fma_f32 v3, -v39, v3, v52
	v_div_scale_f32 v52, vcc, 1.0, v12, 1.0
	v_fmac_f32_e32 v54, v56, v54
	v_mul_f32_e32 v56, v52, v54
	v_fma_f32 v58, -v53, v56, v52
	v_fmac_f32_e32 v56, v58, v54
	v_fma_f32 v52, -v53, v56, v52
	v_div_fmas_f32 v52, v52, v54, v56
	v_div_fixup_f32 v12, v52, v12, 1.0
	v_mul_f32_e32 v54, v3, v12
	v_mul_f32_e32 v58, v13, v12
	;; [unrolled: 1-line block ×4, first 2 shown]
	v_ashrrev_i32_e32 v17, 31, v16
	v_mov_b32_e32 v31, s11
	v_mov_b32_e32 v3, s21
	s_waitcnt vmcnt(1)
	v_pk_mul_f32 v[12:13], v[54:55], v[26:27] op_sel:[0,1] op_sel_hi:[0,0] neg_lo:[0,1]
	v_pk_mul_f32 v[52:53], v[60:61], v[26:27] op_sel_hi:[0,1] neg_lo:[1,0]
	v_pk_fma_f32 v[64:65], v[26:27], v[56:57], v[12:13] op_sel_hi:[1,0,1]
	v_pk_fma_f32 v[26:27], v[26:27], v[58:59], v[52:53] op_sel:[0,0,1] op_sel_hi:[1,0,0]
	v_add_u32_e32 v12, s17, v30
	s_waitcnt vmcnt(0)
	v_pk_fma_f32 v[52:53], v[32:33], v[58:59], v[64:65] op_sel_hi:[1,0,1]
	v_pk_fma_f32 v[52:53], v[32:33], v[60:61], v[52:53] op_sel:[1,0,0] op_sel_hi:[0,0,1] neg_lo:[1,0,0]
	global_store_dwordx2 v[10:11], v[52:53], off
	v_xor_b32_e32 v52, 0x80000000, v39
	v_mov_b32_e32 v53, v38
	v_pk_fma_f32 v[26:27], v[32:33], v[56:57], v[26:27] op_sel_hi:[1,0,1] neg_lo:[1,0,0] neg_hi:[1,0,0]
	v_pk_mul_f32 v[52:53], v[54:55], v[52:53] op_sel_hi:[0,1]
	v_pk_fma_f32 v[26:27], v[32:33], v[54:55], v[26:27] op_sel:[1,0,0] op_sel_hi:[0,0,1] neg_lo:[0,1,0]
	v_lshlrev_b64 v[32:33], 3, v[16:17]
	v_pk_fma_f32 v[38:39], v[38:39], v[56:57], v[52:53] op_sel_hi:[1,0,1]
	global_store_dwordx2 v[24:25], v[26:27], off
	v_add_co_u32_e32 v26, vcc, s10, v32
	v_xor_b32_e32 v52, 0x80000000, v43
	v_pk_fma_f32 v[38:39], v[42:43], v[58:59], v[38:39] op_sel_hi:[1,0,1]
	v_mov_b32_e32 v53, v42
	v_xor_b32_e32 v42, 0x80000000, v19
	v_mov_b32_e32 v43, v18
	v_addc_co_u32_e32 v27, vcc, v31, v33, vcc
	v_pk_mul_f32 v[42:43], v[54:55], v[42:43] op_sel_hi:[0,1]
	v_mov_b32_e32 v64, s13
	v_add_co_u32_e32 v24, vcc, s12, v32
	v_pk_fma_f32 v[42:43], v[18:19], v[56:57], v[42:43] op_sel_hi:[1,0,1]
	v_addc_co_u32_e32 v25, vcc, v64, v33, vcc
	v_pk_fma_f32 v[64:65], v[20:21], v[58:59], v[42:43] op_sel_hi:[1,0,1]
	v_pk_fma_f32 v[42:43], v[52:53], v[60:61], v[38:39] op_sel_hi:[1,0,1]
	v_pk_mul_f32 v[52:53], v[60:61], v[40:41] op_sel_hi:[0,1] neg_lo:[1,0]
	v_pk_fma_f32 v[52:53], v[40:41], v[58:59], v[52:53] op_sel:[0,0,1] op_sel_hi:[1,0,0]
	v_pk_fma_f32 v[52:53], v[50:51], v[56:57], v[52:53] op_sel_hi:[1,0,1] neg_lo:[1,0,0] neg_hi:[1,0,0]
	v_pk_fma_f32 v[38:39], v[20:21], v[60:61], v[64:65] op_sel:[1,0,0] op_sel_hi:[0,0,1] neg_lo:[1,0,0]
	v_pk_fma_f32 v[52:53], v[50:51], v[54:55], v[52:53] op_sel:[1,0,0] op_sel_hi:[0,0,1] neg_lo:[0,1,0]
	global_store_dwordx2 v[4:5], v[38:39], off
	global_store_dwordx2 v[44:45], v[52:53], off
	v_xor_b32_e32 v52, 0x80000000, v41
	v_mov_b32_e32 v53, v40
	v_pk_mul_f32 v[52:53], v[54:55], v[52:53] op_sel_hi:[0,1]
	v_pk_fma_f32 v[52:53], v[40:41], v[56:57], v[52:53] op_sel_hi:[1,0,1]
	v_xor_b32_e32 v40, 0x80000000, v49
	v_mov_b32_e32 v41, v48
	v_pk_fma_f32 v[52:53], v[50:51], v[58:59], v[52:53] op_sel_hi:[1,0,1]
	v_pk_mul_f32 v[40:41], v[54:55], v[40:41] op_sel_hi:[0,1]
	v_pk_fma_f32 v[50:51], v[50:51], v[60:61], v[52:53] op_sel:[1,0,0] op_sel_hi:[0,0,1] neg_lo:[1,0,0]
	v_pk_mul_f32 v[52:53], v[60:61], v[48:49] op_sel_hi:[0,1] neg_lo:[1,0]
	v_pk_fma_f32 v[40:41], v[48:49], v[56:57], v[40:41] op_sel_hi:[1,0,1]
	v_pk_fma_f32 v[52:53], v[48:49], v[58:59], v[52:53] op_sel:[0,0,1] op_sel_hi:[1,0,0]
	v_xor_b32_e32 v48, 0x80000000, v37
	v_mov_b32_e32 v49, v36
	v_ashrrev_i32_e32 v13, 31, v12
	v_pk_mul_f32 v[48:49], v[54:55], v[48:49] op_sel_hi:[0,1]
	v_lshlrev_b64 v[16:17], 3, v[12:13]
	v_pk_fma_f32 v[48:49], v[36:37], v[56:57], v[48:49] op_sel_hi:[1,0,1]
	v_add_co_u32_e32 v16, vcc, s20, v16
	v_pk_fma_f32 v[48:49], v[34:35], v[58:59], v[48:49] op_sel_hi:[1,0,1]
	v_addc_co_u32_e32 v17, vcc, v3, v17, vcc
	v_pk_fma_f32 v[48:49], v[34:35], v[60:61], v[48:49] op_sel:[1,0,0] op_sel_hi:[0,0,1] neg_lo:[1,0,0]
	global_store_dwordx2 v[16:17], v[40:41], off
	global_store_dwordx2 v[6:7], v[50:51], off
	;; [unrolled: 1-line block ×4, first 2 shown]
	v_pk_mul_f32 v[52:53], v[60:61], v[36:37] op_sel_hi:[0,1] neg_lo:[1,0]
	global_load_dwordx2 v[46:47], v[26:27], off
	v_pk_fma_f32 v[52:53], v[36:37], v[58:59], v[52:53] op_sel:[0,0,1] op_sel_hi:[1,0,0]
	v_mov_b32_e32 v13, s15
	v_add_co_u32_e32 v44, vcc, s14, v32
	v_ashrrev_i32_e32 v31, 31, v30
	v_pk_fma_f32 v[52:53], v[34:35], v[56:57], v[52:53] op_sel_hi:[1,0,1] neg_lo:[1,0,0] neg_hi:[1,0,0]
	v_addc_co_u32_e32 v45, vcc, v13, v33, vcc
	v_lshlrev_b64 v[30:31], 3, v[30:31]
	v_pk_fma_f32 v[34:35], v[34:35], v[54:55], v[52:53] op_sel:[1,0,0] op_sel_hi:[0,0,1] neg_lo:[0,1,0]
	v_add_co_u32_e32 v36, vcc, s20, v30
	global_store_dwordx2 v[28:29], v[34:35], off
	v_addc_co_u32_e32 v37, vcc, v3, v31, vcc
	global_load_dwordx2 v[52:53], v[24:25], off
	global_load_dwordx2 v[34:35], v[44:45], off
	;; [unrolled: 1-line block ×3, first 2 shown]
	v_mul_f32_e64 v13, v42, -v43
	global_store_dwordx2 v[22:23], v[42:43], off
	v_pk_mul_f32 v[22:23], v[60:61], v[18:19] op_sel_hi:[0,1] neg_lo:[1,0]
	v_pk_fma_f32 v[18:19], v[18:19], v[58:59], v[22:23] op_sel:[0,0,1] op_sel_hi:[1,0,0]
	v_pk_fma_f32 v[18:19], v[20:21], v[56:57], v[18:19] op_sel_hi:[1,0,1] neg_lo:[1,0,0] neg_hi:[1,0,0]
	v_fmac_f32_e32 v13, v43, v42
	v_pk_fma_f32 v[18:19], v[20:21], v[54:55], v[18:19] op_sel:[1,0,0] op_sel_hi:[0,0,1] neg_lo:[0,1,0]
	v_mul_f32_e32 v3, v43, v43
	global_store_dwordx2 v[14:15], v[18:19], off
	v_fmac_f32_e32 v3, v42, v42
                                        ; implicit-def: $vgpr14
	s_waitcnt vmcnt(6)
	v_fmac_f32_e32 v13, v47, v46
	v_fma_f32 v15, v46, -v47, v13
	v_fmac_f32_e32 v3, v46, v46
	v_cmp_gt_f32_e32 vcc, 0, v15
	v_fmac_f32_e32 v3, v47, v47
	v_cndmask_b32_e64 v13, v15, -v15, vcc
	v_cmp_ngt_f32_e32 vcc, v3, v13
	s_and_saveexec_b64 s[0:1], vcc
	s_xor_b64 s[6:7], exec, s[0:1]
	s_cbranch_execz .LBB8_14
; %bb.11:                               ;   in Loop: Header=BB8_4 Depth=1
	v_cmp_neq_f32_e32 vcc, 0, v15
	v_mov_b32_e32 v14, 0
	s_and_saveexec_b64 s[24:25], vcc
	s_cbranch_execz .LBB8_13
; %bb.12:                               ;   in Loop: Header=BB8_4 Depth=1
	v_div_scale_f32 v14, s[0:1], v13, v13, v3
	v_rcp_f32_e32 v15, v14
	v_div_scale_f32 v18, vcc, v3, v13, v3
	v_fma_f32 v19, -v14, v15, 1.0
	v_fmac_f32_e32 v15, v19, v15
	v_mul_f32_e32 v19, v18, v15
	v_fma_f32 v20, -v14, v19, v18
	v_fmac_f32_e32 v19, v20, v15
	v_fma_f32 v14, -v14, v19, v18
	v_div_fmas_f32 v14, v14, v15, v19
	v_div_fixup_f32 v3, v14, v13, v3
	v_fma_f32 v3, v3, v3, 1.0
	v_mul_f32_e32 v14, 0x4f800000, v3
	v_cmp_gt_f32_e32 vcc, s5, v3
	v_cndmask_b32_e32 v3, v3, v14, vcc
	v_sqrt_f32_e32 v14, v3
	v_add_u32_e32 v15, -1, v14
	v_fma_f32 v18, -v15, v14, v3
	v_cmp_ge_f32_e64 s[0:1], 0, v18
	v_add_u32_e32 v18, 1, v14
	v_cndmask_b32_e64 v15, v14, v15, s[0:1]
	v_fma_f32 v14, -v18, v14, v3
	v_cmp_lt_f32_e64 s[0:1], 0, v14
	v_cndmask_b32_e64 v14, v15, v18, s[0:1]
	v_mul_f32_e32 v15, 0x37800000, v14
	v_cndmask_b32_e32 v14, v14, v15, vcc
	v_cmp_class_f32_e32 vcc, v3, v63
	v_cndmask_b32_e32 v3, v14, v3, vcc
	v_mul_f32_e32 v14, v13, v3
.LBB8_13:                               ;   in Loop: Header=BB8_4 Depth=1
	s_or_b64 exec, exec, s[24:25]
                                        ; implicit-def: $vgpr3
                                        ; implicit-def: $vgpr13
.LBB8_14:                               ;   in Loop: Header=BB8_4 Depth=1
	s_andn2_saveexec_b64 s[6:7], s[6:7]
	s_cbranch_execz .LBB8_3
; %bb.15:                               ;   in Loop: Header=BB8_4 Depth=1
	v_div_scale_f32 v14, s[0:1], v3, v3, v13
	v_rcp_f32_e32 v15, v14
	v_div_scale_f32 v18, vcc, v13, v3, v13
	v_fma_f32 v19, -v14, v15, 1.0
	v_fmac_f32_e32 v15, v19, v15
	v_mul_f32_e32 v19, v18, v15
	v_fma_f32 v20, -v14, v19, v18
	v_fmac_f32_e32 v19, v20, v15
	v_fma_f32 v14, -v14, v19, v18
	v_div_fmas_f32 v14, v14, v15, v19
	v_div_fixup_f32 v13, v14, v3, v13
	v_fma_f32 v13, v13, v13, 1.0
	v_mul_f32_e32 v14, 0x4f800000, v13
	v_cmp_gt_f32_e32 vcc, s5, v13
	v_cndmask_b32_e32 v13, v13, v14, vcc
	v_sqrt_f32_e32 v14, v13
	v_add_u32_e32 v15, -1, v14
	v_fma_f32 v18, -v15, v14, v13
	v_cmp_ge_f32_e64 s[0:1], 0, v18
	v_add_u32_e32 v18, 1, v14
	v_cndmask_b32_e64 v15, v14, v15, s[0:1]
	v_fma_f32 v14, -v18, v14, v13
	v_cmp_lt_f32_e64 s[0:1], 0, v14
	v_cndmask_b32_e64 v14, v15, v18, s[0:1]
	v_mul_f32_e32 v15, 0x37800000, v14
	v_cndmask_b32_e32 v14, v14, v15, vcc
	v_cmp_class_f32_e32 vcc, v13, v63
	v_cndmask_b32_e32 v13, v14, v13, vcc
	v_mul_f32_e32 v14, v3, v13
	s_branch .LBB8_3
.LBB8_16:
	s_add_i32 s24, s16, -1
	s_mul_i32 s24, s24, s18
	v_add_u32_e32 v2, s24, v1
	v_ashrrev_i32_e32 v3, 31, v2
	v_lshlrev_b64 v[42:43], 3, v[2:3]
	s_waitcnt lgkmcnt(0)
	v_add_co_u32_e32 v2, vcc, s8, v42
	s_sub_i32 s8, s24, s18
	v_add_u32_e32 v4, s8, v1
	v_mov_b32_e32 v3, s9
	v_ashrrev_i32_e32 v5, 31, v4
	v_addc_co_u32_e32 v3, vcc, v3, v43, vcc
	v_lshlrev_b64 v[46:47], 3, v[4:5]
	v_mov_b32_e32 v4, s11
	v_add_co_u32_e32 v28, vcc, s10, v46
	v_addc_co_u32_e32 v29, vcc, v4, v47, vcc
	v_add_co_u32_e32 v36, vcc, s10, v42
	v_addc_co_u32_e32 v37, vcc, v4, v43, vcc
	global_load_dwordx2 v[48:49], v[2:3], off
	v_mov_b32_e32 v2, s13
	v_add_co_u32_e32 v30, vcc, s12, v46
	v_addc_co_u32_e32 v31, vcc, v2, v47, vcc
	v_add_co_u32_e32 v40, vcc, s12, v42
	v_addc_co_u32_e32 v41, vcc, v2, v43, vcc
	v_mov_b32_e32 v2, s15
	v_add_co_u32_e32 v16, vcc, s14, v46
	s_mul_i32 s0, s26, s17
	v_addc_co_u32_e32 v17, vcc, v2, v47, vcc
	v_add_u32_e32 v4, s0, v1
	v_add_co_u32_e32 v20, vcc, s14, v42
	v_ashrrev_i32_e32 v5, 31, v4
	v_addc_co_u32_e32 v21, vcc, v2, v43, vcc
	v_lshlrev_b64 v[2:3], 3, v[4:5]
	v_add_u32_e32 v14, s17, v4
	v_mov_b32_e32 v9, s21
	v_add_co_u32_e32 v6, vcc, s20, v2
	v_ashrrev_i32_e32 v15, 31, v14
	global_load_dwordx2 v[50:51], v[28:29], off
	global_load_dwordx2 v[38:39], v[36:37], off
	v_addc_co_u32_e32 v7, vcc, v9, v3, vcc
	v_lshlrev_b64 v[4:5], 3, v[14:15]
	v_add_co_u32_e32 v8, vcc, s20, v4
	global_load_dwordx2 v[44:45], v[30:31], off
	global_load_dwordx2 v[18:19], v[40:41], off
	v_addc_co_u32_e32 v9, vcc, v9, v5, vcc
	global_load_dwordx2 v[10:11], v[6:7], off
	global_load_dwordx2 v[4:5], v[8:9], off
	;; [unrolled: 1-line block ×4, first 2 shown]
                                        ; implicit-def: $vgpr25
	s_waitcnt vmcnt(8)
	v_mul_f32_e64 v24, v48, -v49
	v_fmac_f32_e32 v24, v49, v48
	v_mul_f32_e32 v15, v49, v49
	v_fmac_f32_e32 v15, v48, v48
	s_waitcnt vmcnt(7)
	v_fmac_f32_e32 v24, v51, v50
	v_fma_f32 v26, v50, -v51, v24
	v_fmac_f32_e32 v15, v50, v50
	v_cmp_gt_f32_e32 vcc, 0, v26
	v_fmac_f32_e32 v15, v51, v51
	v_cndmask_b32_e64 v24, v26, -v26, vcc
	v_cmp_ngt_f32_e32 vcc, v15, v24
	s_and_saveexec_b64 s[0:1], vcc
	s_xor_b64 s[4:5], exec, s[0:1]
	s_cbranch_execz .LBB8_20
; %bb.17:
	v_cmp_neq_f32_e32 vcc, 0, v26
	v_mov_b32_e32 v25, 0
	s_and_saveexec_b64 s[6:7], vcc
	s_cbranch_execz .LBB8_19
; %bb.18:
	v_div_scale_f32 v25, s[0:1], v24, v24, v15
	v_rcp_f32_e32 v26, v25
	v_div_scale_f32 v27, vcc, v15, v24, v15
	s_mov_b32 s0, 0xf800000
	v_fma_f32 v32, -v25, v26, 1.0
	v_fmac_f32_e32 v26, v32, v26
	v_mul_f32_e32 v32, v27, v26
	v_fma_f32 v33, -v25, v32, v27
	v_fmac_f32_e32 v32, v33, v26
	v_fma_f32 v25, -v25, v32, v27
	v_div_fmas_f32 v25, v25, v26, v32
	v_div_fixup_f32 v15, v25, v24, v15
	v_fma_f32 v15, v15, v15, 1.0
	v_mul_f32_e32 v25, 0x4f800000, v15
	v_cmp_gt_f32_e32 vcc, s0, v15
	v_cndmask_b32_e32 v15, v15, v25, vcc
	v_sqrt_f32_e32 v25, v15
	v_add_u32_e32 v26, -1, v25
	v_fma_f32 v27, -v26, v25, v15
	v_cmp_ge_f32_e64 s[0:1], 0, v27
	v_add_u32_e32 v27, 1, v25
	v_cndmask_b32_e64 v26, v25, v26, s[0:1]
	v_fma_f32 v25, -v27, v25, v15
	v_cmp_lt_f32_e64 s[0:1], 0, v25
	v_cndmask_b32_e64 v25, v26, v27, s[0:1]
	v_mul_f32_e32 v26, 0x37800000, v25
	v_cndmask_b32_e32 v25, v25, v26, vcc
	v_mov_b32_e32 v26, 0x260
	v_cmp_class_f32_e32 vcc, v15, v26
	v_cndmask_b32_e32 v15, v25, v15, vcc
	v_mul_f32_e32 v25, v24, v15
.LBB8_19:
	s_or_b64 exec, exec, s[6:7]
                                        ; implicit-def: $vgpr15
                                        ; implicit-def: $vgpr24
.LBB8_20:
	s_andn2_saveexec_b64 s[4:5], s[4:5]
	s_cbranch_execz .LBB8_22
; %bb.21:
	v_div_scale_f32 v25, s[0:1], v15, v15, v24
	v_rcp_f32_e32 v26, v25
	v_div_scale_f32 v27, vcc, v24, v15, v24
	s_mov_b32 s0, 0xf800000
	v_fma_f32 v32, -v25, v26, 1.0
	v_fmac_f32_e32 v26, v32, v26
	v_mul_f32_e32 v32, v27, v26
	v_fma_f32 v33, -v25, v32, v27
	v_fmac_f32_e32 v32, v33, v26
	v_fma_f32 v25, -v25, v32, v27
	v_div_fmas_f32 v25, v25, v26, v32
	v_div_fixup_f32 v24, v25, v15, v24
	v_fma_f32 v24, v24, v24, 1.0
	v_mul_f32_e32 v25, 0x4f800000, v24
	v_cmp_gt_f32_e32 vcc, s0, v24
	v_cndmask_b32_e32 v24, v24, v25, vcc
	v_sqrt_f32_e32 v25, v24
	v_add_u32_e32 v26, -1, v25
	v_fma_f32 v27, -v26, v25, v24
	v_cmp_ge_f32_e64 s[0:1], 0, v27
	v_add_u32_e32 v27, 1, v25
	v_cndmask_b32_e64 v26, v25, v26, s[0:1]
	v_fma_f32 v25, -v27, v25, v24
	v_cmp_lt_f32_e64 s[0:1], 0, v25
	v_cndmask_b32_e64 v25, v26, v27, s[0:1]
	v_mul_f32_e32 v26, 0x37800000, v25
	v_cndmask_b32_e32 v25, v25, v26, vcc
	v_mov_b32_e32 v26, 0x260
	v_cmp_class_f32_e32 vcc, v24, v26
	v_cndmask_b32_e32 v24, v25, v24, vcc
	v_mul_f32_e32 v25, v15, v24
.LBB8_22:
	s_or_b64 exec, exec, s[4:5]
	s_mov_b32 s0, 0xf800000
	v_mul_f32_e32 v15, 0x4f800000, v25
	v_cmp_gt_f32_e32 vcc, s0, v25
	v_cndmask_b32_e32 v15, v25, v15, vcc
	v_sqrt_f32_e32 v24, v15
	v_xor_b32_e32 v54, 0x80000000, v49
	v_mov_b32_e32 v55, v48
	v_xor_b32_e32 v52, 0x80000000, v51
	v_add_u32_e32 v25, -1, v24
	v_fma_f32 v26, -v25, v24, v15
	v_cmp_ge_f32_e64 s[0:1], 0, v26
	v_add_u32_e32 v26, 1, v24
	v_cndmask_b32_e64 v25, v24, v25, s[0:1]
	v_fma_f32 v24, -v26, v24, v15
	v_cmp_lt_f32_e64 s[0:1], 0, v24
	v_cndmask_b32_e64 v24, v25, v26, s[0:1]
	v_mul_f32_e32 v25, 0x37800000, v24
	v_cndmask_b32_e32 v24, v24, v25, vcc
	v_mov_b32_e32 v25, 0x260
	v_cmp_class_f32_e32 vcc, v15, v25
	v_cndmask_b32_e32 v15, v24, v15, vcc
	v_fma_f32 v24, v15, v15, 0
	v_div_scale_f32 v25, s[0:1], v24, v24, 1.0
	v_rcp_f32_e32 v26, v25
	v_mov_b32_e32 v53, v50
	s_sub_i32 s4, s8, s18
	v_fma_f32 v27, -v25, v26, 1.0
	v_fmac_f32_e32 v26, v27, v26
	v_div_scale_f32 v27, vcc, 1.0, v24, 1.0
	v_mul_f32_e32 v32, v27, v26
	v_fma_f32 v33, -v25, v32, v27
	v_fmac_f32_e32 v32, v33, v26
	v_fma_f32 v25, -v25, v32, v27
	v_div_fmas_f32 v25, v25, v26, v32
	v_div_fixup_f32 v25, v25, v24, 1.0
	v_mul_f32_e32 v24, 0x80000000, v51
	v_fmac_f32_e32 v24, v50, v15
	v_mul_f32_e32 v32, v24, v25
	v_mul_f32_e32 v24, 0x80000000, v50
	v_fma_f32 v24, -v51, v15, v24
	v_mul_f32_e32 v34, v24, v25
	v_mul_f32_e32 v24, 0x80000000, v49
	;; [unrolled: 1-line block ×3, first 2 shown]
	v_fmac_f32_e32 v24, v48, v15
	v_fma_f32 v15, -v49, v15, v26
	v_mul_f32_e32 v26, v15, v25
	v_mul_f32_e32 v24, v24, v25
	v_pk_mul_f32 v[54:55], v[26:27], v[54:55] op_sel_hi:[0,1]
	v_pk_fma_f32 v[48:49], v[48:49], v[24:25], v[54:55] op_sel_hi:[1,0,1]
	v_pk_fma_f32 v[48:49], v[50:51], v[32:33], v[48:49] op_sel_hi:[1,0,1]
	;; [unrolled: 1-line block ×3, first 2 shown]
	global_store_dwordx2 v[28:29], v[48:49], off
	s_waitcnt vmcnt(7)
	v_pk_mul_f32 v[48:49], v[34:35], v[38:39] op_sel_hi:[0,1] neg_lo:[1,0]
	v_mov_b32_e32 v25, s3
	v_pk_fma_f32 v[48:49], v[38:39], v[32:33], v[48:49] op_sel:[0,0,1] op_sel_hi:[1,0,0]
	v_add_co_u32_e32 v42, vcc, s2, v42
	s_waitcnt vmcnt(6)
	v_pk_fma_f32 v[48:49], v[44:45], v[24:25], v[48:49] op_sel_hi:[1,0,1] neg_lo:[1,0,0] neg_hi:[1,0,0]
	v_addc_co_u32_e32 v43, vcc, v25, v43, vcc
	v_pk_fma_f32 v[48:49], v[44:45], v[26:27], v[48:49] op_sel:[1,0,0] op_sel_hi:[0,0,1] neg_lo:[0,1,0]
	global_load_dwordx2 v[50:51], v[42:43], off
	v_add_co_u32_e32 v46, vcc, s2, v46
	global_store_dwordx2 v[36:37], v[48:49], off
	v_addc_co_u32_e32 v47, vcc, v25, v47, vcc
	global_load_dwordx2 v[52:53], v[46:47], off
	v_xor_b32_e32 v54, 0x80000000, v39
	global_load_dword v36, v[36:37], off offset:4
	v_mov_b32_e32 v55, v38
	v_pk_mul_f32 v[54:55], v[26:27], v[54:55] op_sel_hi:[0,1]
	s_waitcnt vmcnt(9)
	v_pk_mul_f32 v[56:57], v[34:35], v[18:19] op_sel_hi:[0,1] neg_lo:[1,0]
	v_pk_fma_f32 v[38:39], v[38:39], v[24:25], v[54:55] op_sel_hi:[1,0,1]
	v_pk_fma_f32 v[54:55], v[18:19], v[32:33], v[56:57] op_sel:[0,0,1] op_sel_hi:[1,0,0]
	v_pk_fma_f32 v[38:39], v[44:45], v[32:33], v[38:39] op_sel_hi:[1,0,1]
	s_waitcnt vmcnt(6)
	v_pk_fma_f32 v[54:55], v[22:23], v[24:25], v[54:55] op_sel_hi:[1,0,1] neg_lo:[1,0,0] neg_hi:[1,0,0]
	v_pk_fma_f32 v[38:39], v[44:45], v[34:35], v[38:39] op_sel:[1,0,0] op_sel_hi:[0,0,1] neg_lo:[1,0,0]
	v_pk_fma_f32 v[44:45], v[22:23], v[26:27], v[54:55] op_sel:[1,0,0] op_sel_hi:[0,0,1] neg_lo:[0,1,0]
	global_store_dwordx2 v[30:31], v[38:39], off
	global_store_dwordx2 v[40:41], v[44:45], off
	global_load_dwordx2 v[38:39], v[30:31], off
	s_nop 0
	global_load_dwordx2 v[40:41], v[28:29], off
	v_add_u32_e32 v44, s4, v1
	v_ashrrev_i32_e32 v45, 31, v44
	v_lshlrev_b64 v[44:45], 3, v[44:45]
	s_waitcnt vmcnt(7)
	v_pk_mul_f32 v[30:31], v[34:35], v[50:51] op_sel_hi:[0,1] neg_lo:[1,0]
	v_pk_fma_f32 v[30:31], v[50:51], v[32:33], v[30:31] op_sel:[0,0,1] op_sel_hi:[1,0,0]
	v_pk_mul_f32 v[28:29], v[26:27], v[50:51] op_sel:[0,1] op_sel_hi:[0,0] neg_lo:[0,1]
	v_pk_fma_f32 v[28:29], v[50:51], v[24:25], v[28:29] op_sel_hi:[1,0,1]
	s_waitcnt vmcnt(5)
	v_pk_fma_f32 v[30:31], v[52:53], v[24:25], v[30:31] op_sel_hi:[1,0,1] neg_lo:[1,0,0] neg_hi:[1,0,0]
	v_pk_fma_f32 v[30:31], v[52:53], v[26:27], v[30:31] op_sel:[1,0,0] op_sel_hi:[0,0,1] neg_lo:[0,1,0]
	s_waitcnt vmcnt(4)
	v_mul_f32_e32 v15, v36, v36
	v_fmac_f32_e32 v15, v48, v48
	v_div_scale_f32 v27, s[0:1], v15, v15, 1.0
	v_pk_fma_f32 v[28:29], v[52:53], v[32:33], v[28:29] op_sel_hi:[1,0,1]
	v_rcp_f32_e32 v33, v27
	v_pk_fma_f32 v[28:29], v[52:53], v[34:35], v[28:29] op_sel:[1,0,0] op_sel_hi:[0,0,1] neg_lo:[1,0,0]
	global_store_dwordx2 v[46:47], v[28:29], off
	v_xor_b32_e32 v29, 0x80000000, v30
	v_mov_b32_e32 v28, v31
	v_pk_mul_f32 v[28:29], v[36:37], v[28:29] op_sel_hi:[0,1]
	v_pk_fma_f32 v[28:29], v[30:31], v[48:49], v[28:29] op_sel_hi:[1,0,1]
	v_fma_f32 v31, -v27, v33, 1.0
	v_div_scale_f32 v30, vcc, 1.0, v15, 1.0
	v_fmac_f32_e32 v33, v31, v33
	v_mul_f32_e32 v31, v30, v33
	v_fma_f32 v35, -v27, v31, v30
	v_fmac_f32_e32 v31, v35, v33
	v_fma_f32 v27, -v27, v31, v30
	v_div_fmas_f32 v27, v27, v33, v31
	v_div_fixup_f32 v30, v27, v15, 1.0
	v_pk_mul_f32 v[28:29], v[30:31], v[28:29] op_sel_hi:[0,1]
	global_store_dwordx2 v[42:43], v[28:29], off
	global_load_dwordx2 v[30:31], v[46:47], off
	v_xor_b32_e32 v36, 0x80000000, v19
	v_mov_b32_e32 v37, v18
	v_mov_b32_e32 v27, s13
	;; [unrolled: 1-line block ×4, first 2 shown]
	v_pk_mul_f32 v[36:37], v[26:27], v[36:37] op_sel_hi:[0,1]
	v_pk_mul_f32 v[54:55], v[34:35], v[12:13] op_sel_hi:[0,1] neg_lo:[1,0]
	v_pk_fma_f32 v[18:19], v[18:19], v[24:25], v[36:37] op_sel_hi:[1,0,1]
	v_pk_fma_f32 v[36:37], v[12:13], v[32:33], v[54:55] op_sel:[0,0,1] op_sel_hi:[1,0,0]
	v_add_co_u32_e32 v48, vcc, s2, v44
	v_pk_fma_f32 v[18:19], v[22:23], v[32:33], v[18:19] op_sel_hi:[1,0,1]
	v_pk_fma_f32 v[36:37], v[10:11], v[24:25], v[36:37] op_sel_hi:[1,0,1] neg_lo:[1,0,0] neg_hi:[1,0,0]
	s_waitcnt vmcnt(3)
	v_mul_f32_e32 v15, v41, v41
	v_addc_co_u32_e32 v49, vcc, v25, v45, vcc
	v_pk_fma_f32 v[18:19], v[22:23], v[34:35], v[18:19] op_sel:[1,0,0] op_sel_hi:[0,0,1] neg_lo:[1,0,0]
	v_pk_fma_f32 v[22:23], v[10:11], v[26:27], v[36:37] op_sel:[1,0,0] op_sel_hi:[0,0,1] neg_lo:[0,1,0]
	v_fmac_f32_e32 v15, v40, v40
	v_add_co_u32_e32 v50, vcc, s12, v44
	global_store_dwordx2 v[16:17], v[18:19], off
	global_store_dwordx2 v[20:21], v[22:23], off
	v_div_scale_f32 v22, s[0:1], v15, v15, 1.0
	v_addc_co_u32_e32 v51, vcc, v27, v45, vcc
	v_rcp_f32_e32 v23, v22
	v_add_co_u32_e32 v52, vcc, s14, v44
	v_addc_co_u32_e32 v53, vcc, v33, v45, vcc
	v_add_co_u32_e32 v44, vcc, s10, v44
	v_addc_co_u32_e32 v45, vcc, v35, v45, vcc
	v_fma_f32 v37, -v22, v23, 1.0
	global_load_dwordx2 v[16:17], v[50:51], off
	global_load_dwordx2 v[18:19], v[52:53], off
	;; [unrolled: 1-line block ×3, first 2 shown]
	v_div_scale_f32 v36, vcc, 1.0, v15, 1.0
	v_fmac_f32_e32 v23, v37, v23
	v_mul_f32_e32 v37, v36, v23
	v_fma_f32 v44, -v22, v37, v36
	v_fmac_f32_e32 v37, v44, v23
	v_fma_f32 v22, -v22, v37, v36
	v_div_fmas_f32 v22, v22, v23, v37
	v_pk_mul_f32 v[36:37], v[28:29], v[38:39] op_sel:[1,1] op_sel_hi:[1,0] neg_lo:[0,1]
	v_pk_fma_f32 v[28:29], v[38:39], v[28:29], v[36:37] op_sel_hi:[1,0,1]
	v_div_fixup_f32 v22, v22, v15, 1.0
	v_mad_u64_u32 v[14:15], s[0:1], s17, -3, v[14:15]
	s_sub_i32 s0, s4, s18
	v_ashrrev_i32_e32 v15, 31, v14
	v_add_u32_e32 v38, s0, v1
	v_lshlrev_b64 v[14:15], 3, v[14:15]
	v_ashrrev_i32_e32 v39, 31, v38
	v_add_co_u32_e32 v14, vcc, s20, v14
	v_xor_b32_e32 v36, 0x80000000, v13
	v_mov_b32_e32 v37, v12
	v_lshlrev_b64 v[38:39], 3, v[38:39]
	v_pk_mul_f32 v[36:37], v[26:27], v[36:37] op_sel_hi:[0,1]
	v_pk_fma_f32 v[12:13], v[12:13], v[24:25], v[36:37] op_sel_hi:[1,0,1]
	v_pk_fma_f32 v[12:13], v[10:11], v[32:33], v[12:13] op_sel_hi:[1,0,1]
	v_pk_mul_f32 v[52:53], v[34:35], v[4:5] op_sel_hi:[0,1] neg_lo:[1,0]
	v_pk_fma_f32 v[10:11], v[10:11], v[34:35], v[12:13] op_sel:[1,0,0] op_sel_hi:[0,0,1] neg_lo:[1,0,0]
	v_pk_fma_f32 v[36:37], v[4:5], v[32:33], v[52:53] op_sel:[0,0,1] op_sel_hi:[1,0,0]
	s_cmp_lt_i32 s16, 5
	s_waitcnt vmcnt(5)
	v_pk_add_f32 v[28:29], v[30:31], v[28:29] neg_lo:[0,1] neg_hi:[0,1]
	v_pk_mul_f32 v[30:31], v[40:41], v[28:29] op_sel:[1,1] op_sel_hi:[1,0] neg_hi:[0,1]
	v_pk_fma_f32 v[28:29], v[28:29], v[40:41], v[30:31] op_sel_hi:[1,0,1]
	v_pk_mul_f32 v[22:23], v[22:23], v[28:29] op_sel_hi:[0,1]
	global_store_dwordx2 v[46:47], v[22:23], off
	global_load_dwordx2 v[28:29], v[48:49], off
	global_load_dwordx2 v[30:31], v[42:43], off
	v_mov_b32_e32 v40, s21
	v_addc_co_u32_e32 v15, vcc, v40, v15, vcc
	v_add_co_u32_e32 v40, vcc, s2, v38
	v_addc_co_u32_e32 v41, vcc, v25, v39, vcc
	v_add_co_u32_e32 v44, vcc, s12, v38
	;; [unrolled: 2-line block ×3, first 2 shown]
	global_store_dwordx2 v[6:7], v[10:11], off
	global_store_dwordx2 v[8:9], v[36:37], off
	v_addc_co_u32_e32 v51, vcc, v33, v39, vcc
	global_load_dwordx2 v[6:7], v[44:45], off
	global_load_dwordx2 v[8:9], v[50:51], off
	;; [unrolled: 1-line block ×3, first 2 shown]
	v_add_co_u32_e32 v38, vcc, s10, v38
	v_addc_co_u32_e32 v39, vcc, v35, v39, vcc
	global_load_dwordx2 v[12:13], v[38:39], off
	s_waitcnt vmcnt(9)
	v_mul_f32_e32 v1, v21, v21
	v_fmac_f32_e32 v1, v20, v20
	v_div_scale_f32 v14, s[0:1], v1, v1, 1.0
	v_rcp_f32_e32 v15, v14
	v_div_scale_f32 v25, vcc, 1.0, v1, 1.0
	v_fma_f32 v27, -v14, v15, 1.0
	v_fmac_f32_e32 v15, v27, v15
	v_mul_f32_e32 v27, v25, v15
	v_fma_f32 v32, -v14, v27, v25
	v_fmac_f32_e32 v27, v32, v15
	v_pk_mul_f32 v[32:33], v[22:23], v[16:17] op_sel:[1,1] op_sel_hi:[1,0] neg_lo:[0,1]
	v_pk_fma_f32 v[16:17], v[16:17], v[22:23], v[32:33] op_sel_hi:[1,0,1]
	v_fma_f32 v14, -v14, v27, v25
	v_div_fmas_f32 v14, v14, v15, v27
	v_div_fixup_f32 v14, v14, v1, 1.0
	v_mov_b32_e32 v1, s23
	v_add_co_u32_e32 v2, vcc, s22, v2
	v_addc_co_u32_e32 v3, vcc, v1, v3, vcc
	s_waitcnt vmcnt(7)
	v_pk_add_f32 v[16:17], v[28:29], v[16:17] neg_lo:[0,1] neg_hi:[0,1]
	s_waitcnt vmcnt(6)
	v_pk_mul_f32 v[22:23], v[30:31], v[18:19] op_sel:[1,1] op_sel_hi:[1,0] neg_lo:[0,1]
	v_pk_fma_f32 v[18:19], v[18:19], v[30:31], v[22:23] op_sel_hi:[1,0,1]
	v_pk_add_f32 v[16:17], v[16:17], v[18:19] neg_lo:[0,1] neg_hi:[0,1]
	v_pk_mul_f32 v[18:19], v[20:21], v[16:17] op_sel:[1,1] op_sel_hi:[1,0] neg_hi:[0,1]
	v_pk_fma_f32 v[16:17], v[16:17], v[20:21], v[18:19] op_sel_hi:[1,0,1]
	v_pk_mul_f32 v[14:15], v[14:15], v[16:17] op_sel_hi:[0,1]
	global_store_dwordx2 v[48:49], v[14:15], off
	global_load_dwordx2 v[16:17], v[40:41], off
	global_load_dwordx2 v[18:19], v[46:47], off
	;; [unrolled: 1-line block ×3, first 2 shown]
	v_xor_b32_e32 v22, 0x80000000, v5
	v_mov_b32_e32 v23, v4
	v_pk_mul_f32 v[22:23], v[26:27], v[22:23] op_sel_hi:[0,1]
	v_pk_fma_f32 v[4:5], v[4:5], v[24:25], v[22:23] op_sel_hi:[1,0,1]
	global_store_dwordx2 v[2:3], v[4:5], off
	s_waitcnt vmcnt(5)
	v_mul_f32_e32 v1, v13, v13
	v_fmac_f32_e32 v1, v12, v12
	v_div_scale_f32 v22, s[0:1], v1, v1, 1.0
	v_rcp_f32_e32 v23, v22
	v_div_scale_f32 v2, vcc, 1.0, v1, 1.0
	v_fma_f32 v3, -v22, v23, 1.0
	v_fmac_f32_e32 v23, v3, v23
	v_mul_f32_e32 v3, v2, v23
	v_fma_f32 v4, -v22, v3, v2
	v_fmac_f32_e32 v3, v4, v23
	v_pk_mul_f32 v[4:5], v[14:15], v[6:7] op_sel:[1,1] op_sel_hi:[1,0] neg_lo:[0,1]
	v_pk_fma_f32 v[4:5], v[6:7], v[14:15], v[4:5] op_sel_hi:[1,0,1]
	v_fma_f32 v2, -v22, v3, v2
	v_div_fmas_f32 v2, v2, v23, v3
	v_div_fixup_f32 v2, v2, v1, 1.0
	s_waitcnt vmcnt(3)
	v_pk_add_f32 v[4:5], v[16:17], v[4:5] neg_lo:[0,1] neg_hi:[0,1]
	s_waitcnt vmcnt(2)
	v_pk_mul_f32 v[6:7], v[18:19], v[8:9] op_sel:[1,1] op_sel_hi:[1,0] neg_lo:[0,1]
	s_waitcnt vmcnt(1)
	v_pk_mul_f32 v[14:15], v[20:21], v[10:11] op_sel:[1,1] op_sel_hi:[1,0] neg_lo:[0,1]
	v_pk_fma_f32 v[6:7], v[8:9], v[18:19], v[6:7] op_sel_hi:[1,0,1]
	v_pk_fma_f32 v[8:9], v[10:11], v[20:21], v[14:15] op_sel_hi:[1,0,1]
	v_pk_add_f32 v[4:5], v[4:5], v[6:7] neg_lo:[0,1] neg_hi:[0,1]
	v_pk_add_f32 v[4:5], v[4:5], v[8:9] neg_lo:[0,1] neg_hi:[0,1]
	v_pk_mul_f32 v[6:7], v[12:13], v[4:5] op_sel:[1,1] op_sel_hi:[1,0] neg_hi:[0,1]
	v_pk_fma_f32 v[4:5], v[4:5], v[12:13], v[6:7] op_sel_hi:[1,0,1]
	v_pk_mul_f32 v[2:3], v[2:3], v[4:5] op_sel_hi:[0,1]
	global_store_dwordx2 v[40:41], v[2:3], off
	s_cbranch_scc1 .LBB8_25
; %bb.23:
	s_add_i32 s1, s16, -5
	s_add_i32 s0, s16, -4
	s_mul_i32 s4, s17, s1
	v_add_u32_e32 v1, s4, v0
	s_mul_i32 s4, s18, s0
	v_add_u32_e32 v2, s4, v0
	s_add_i32 s4, s16, -3
	s_mul_i32 s4, s18, s4
	v_add_u32_e32 v3, s4, v0
	s_mul_i32 s4, s18, s26
	s_mul_i32 s1, s18, s1
	v_add_u32_e32 v4, s4, v0
	v_add_u32_e32 v5, s24, v0
	;; [unrolled: 1-line block ×3, first 2 shown]
.LBB8_24:                               ; =>This Inner Loop Header: Depth=1
	v_add_u32_e32 v6, s19, v0
	v_ashrrev_i32_e32 v7, 31, v6
	v_lshlrev_b64 v[6:7], 3, v[6:7]
	v_mov_b32_e32 v26, s3
	v_add_co_u32_e32 v18, vcc, s2, v6
	v_add_u32_e32 v8, s19, v2
	v_addc_co_u32_e32 v19, vcc, v26, v7, vcc
	v_mov_b32_e32 v21, s13
	v_ashrrev_i32_e32 v9, 31, v8
	v_add_co_u32_e32 v20, vcc, s12, v6
	v_lshlrev_b64 v[8:9], 3, v[8:9]
	v_addc_co_u32_e32 v21, vcc, v21, v7, vcc
	v_add_co_u32_e32 v8, vcc, s2, v8
	v_add_u32_e32 v10, s19, v3
	v_addc_co_u32_e32 v9, vcc, v26, v9, vcc
	v_mov_b32_e32 v23, s15
	v_ashrrev_i32_e32 v11, 31, v10
	v_add_co_u32_e32 v22, vcc, s14, v6
	v_add_u32_e32 v12, s19, v1
	v_lshlrev_b64 v[10:11], 3, v[10:11]
	v_addc_co_u32_e32 v23, vcc, v23, v7, vcc
	v_ashrrev_i32_e32 v13, 31, v12
	v_add_co_u32_e32 v10, vcc, s2, v10
	v_add_u32_e32 v14, s19, v4
	v_lshlrev_b64 v[12:13], 3, v[12:13]
	v_addc_co_u32_e32 v11, vcc, v26, v11, vcc
	v_mov_b32_e32 v25, s21
	v_ashrrev_i32_e32 v15, 31, v14
	v_add_co_u32_e32 v24, vcc, s20, v12
	v_lshlrev_b64 v[14:15], 3, v[14:15]
	v_addc_co_u32_e32 v25, vcc, v25, v13, vcc
	v_add_co_u32_e32 v14, vcc, s2, v14
	v_add_u32_e32 v16, s19, v5
	v_addc_co_u32_e32 v15, vcc, v26, v15, vcc
	v_mov_b32_e32 v27, s23
	v_ashrrev_i32_e32 v17, 31, v16
	v_add_co_u32_e32 v12, vcc, s22, v12
	v_lshlrev_b64 v[16:17], 3, v[16:17]
	v_addc_co_u32_e32 v13, vcc, v27, v13, vcc
	v_add_co_u32_e32 v16, vcc, s2, v16
	v_addc_co_u32_e32 v17, vcc, v26, v17, vcc
	v_mov_b32_e32 v28, s11
	v_add_co_u32_e32 v6, vcc, s10, v6
	v_addc_co_u32_e32 v7, vcc, v28, v7, vcc
	global_load_dwordx2 v[26:27], v[20:21], off
	global_load_dwordx2 v[28:29], v[8:9], off
	;; [unrolled: 1-line block ×10, first 2 shown]
	s_add_i32 s0, s0, -1
	v_subrev_u32_e32 v1, s17, v1
	v_subrev_u32_e32 v2, s18, v2
	;; [unrolled: 1-line block ×6, first 2 shown]
	s_cmp_lg_u32 s0, 0
	s_waitcnt vmcnt(8)
	v_pk_mul_f32 v[6:7], v[28:29], v[26:27] op_sel:[1,1] op_sel_hi:[1,0] neg_lo:[0,1]
	v_pk_fma_f32 v[6:7], v[26:27], v[28:29], v[6:7] op_sel_hi:[1,0,1]
	s_waitcnt vmcnt(7)
	v_pk_add_f32 v[6:7], v[30:31], v[6:7] neg_lo:[0,1] neg_hi:[0,1]
	s_waitcnt vmcnt(5)
	v_pk_mul_f32 v[8:9], v[34:35], v[32:33] op_sel:[1,1] op_sel_hi:[1,0] neg_lo:[0,1]
	s_waitcnt vmcnt(4)
	v_mul_f32_e32 v14, v37, v37
	v_fmac_f32_e32 v14, v36, v36
	v_div_scale_f32 v15, s[4:5], v14, v14, 1.0
	v_rcp_f32_e32 v17, v15
	s_waitcnt vmcnt(2)
	v_pk_mul_f32 v[10:11], v[40:41], v[38:39] op_sel:[1,1] op_sel_hi:[1,0] neg_lo:[0,1]
	v_pk_fma_f32 v[8:9], v[32:33], v[34:35], v[8:9] op_sel_hi:[1,0,1]
	s_waitcnt vmcnt(0)
	v_pk_mul_f32 v[12:13], v[44:45], v[42:43] op_sel:[1,1] op_sel_hi:[1,0] neg_lo:[0,1]
	v_pk_fma_f32 v[10:11], v[38:39], v[40:41], v[10:11] op_sel_hi:[1,0,1]
	v_pk_add_f32 v[6:7], v[6:7], v[8:9] neg_lo:[0,1] neg_hi:[0,1]
	v_pk_fma_f32 v[12:13], v[42:43], v[44:45], v[12:13] op_sel_hi:[1,0,1]
	v_pk_add_f32 v[6:7], v[6:7], v[10:11] neg_lo:[0,1] neg_hi:[0,1]
	v_pk_add_f32 v[6:7], v[6:7], v[12:13] neg_lo:[0,1] neg_hi:[0,1]
	v_fma_f32 v10, -v15, v17, 1.0
	v_div_scale_f32 v16, vcc, 1.0, v14, 1.0
	v_pk_mul_f32 v[8:9], v[36:37], v[6:7] op_sel:[1,1] op_sel_hi:[1,0] neg_hi:[0,1]
	v_fmac_f32_e32 v17, v10, v17
	v_pk_fma_f32 v[6:7], v[6:7], v[36:37], v[8:9] op_sel_hi:[1,0,1]
	v_mul_f32_e32 v8, v16, v17
	v_fma_f32 v9, -v15, v8, v16
	v_fmac_f32_e32 v8, v9, v17
	v_fma_f32 v9, -v15, v8, v16
	v_div_fmas_f32 v8, v9, v17, v8
	v_div_fixup_f32 v8, v8, v14, 1.0
	v_pk_mul_f32 v[6:7], v[8:9], v[6:7] op_sel_hi:[0,1]
	global_store_dwordx2 v[18:19], v[6:7], off
	s_cbranch_scc1 .LBB8_24
.LBB8_25:
	s_endpgm
	.section	.rodata,"a",@progbits
	.p2align	6, 0x0
	.amdhsa_kernel _ZN9rocsparseL39gpsv_interleaved_batch_givens_qr_kernelILj128E21rocsparse_complex_numIfEEEviiiPT0_S4_S4_S4_S4_S4_S4_S4_
		.amdhsa_group_segment_fixed_size 0
		.amdhsa_private_segment_fixed_size 0
		.amdhsa_kernarg_size 80
		.amdhsa_user_sgpr_count 6
		.amdhsa_user_sgpr_private_segment_buffer 1
		.amdhsa_user_sgpr_dispatch_ptr 0
		.amdhsa_user_sgpr_queue_ptr 0
		.amdhsa_user_sgpr_kernarg_segment_ptr 1
		.amdhsa_user_sgpr_dispatch_id 0
		.amdhsa_user_sgpr_flat_scratch_init 0
		.amdhsa_user_sgpr_kernarg_preload_length 0
		.amdhsa_user_sgpr_kernarg_preload_offset 0
		.amdhsa_user_sgpr_private_segment_size 0
		.amdhsa_uses_dynamic_stack 0
		.amdhsa_system_sgpr_private_segment_wavefront_offset 0
		.amdhsa_system_sgpr_workgroup_id_x 1
		.amdhsa_system_sgpr_workgroup_id_y 0
		.amdhsa_system_sgpr_workgroup_id_z 0
		.amdhsa_system_sgpr_workgroup_info 0
		.amdhsa_system_vgpr_workitem_id 0
		.amdhsa_next_free_vgpr 66
		.amdhsa_next_free_sgpr 29
		.amdhsa_accum_offset 68
		.amdhsa_reserve_vcc 1
		.amdhsa_reserve_flat_scratch 0
		.amdhsa_float_round_mode_32 0
		.amdhsa_float_round_mode_16_64 0
		.amdhsa_float_denorm_mode_32 3
		.amdhsa_float_denorm_mode_16_64 3
		.amdhsa_dx10_clamp 1
		.amdhsa_ieee_mode 1
		.amdhsa_fp16_overflow 0
		.amdhsa_tg_split 0
		.amdhsa_exception_fp_ieee_invalid_op 0
		.amdhsa_exception_fp_denorm_src 0
		.amdhsa_exception_fp_ieee_div_zero 0
		.amdhsa_exception_fp_ieee_overflow 0
		.amdhsa_exception_fp_ieee_underflow 0
		.amdhsa_exception_fp_ieee_inexact 0
		.amdhsa_exception_int_div_zero 0
	.end_amdhsa_kernel
	.section	.text._ZN9rocsparseL39gpsv_interleaved_batch_givens_qr_kernelILj128E21rocsparse_complex_numIfEEEviiiPT0_S4_S4_S4_S4_S4_S4_S4_,"axG",@progbits,_ZN9rocsparseL39gpsv_interleaved_batch_givens_qr_kernelILj128E21rocsparse_complex_numIfEEEviiiPT0_S4_S4_S4_S4_S4_S4_S4_,comdat
.Lfunc_end8:
	.size	_ZN9rocsparseL39gpsv_interleaved_batch_givens_qr_kernelILj128E21rocsparse_complex_numIfEEEviiiPT0_S4_S4_S4_S4_S4_S4_S4_, .Lfunc_end8-_ZN9rocsparseL39gpsv_interleaved_batch_givens_qr_kernelILj128E21rocsparse_complex_numIfEEEviiiPT0_S4_S4_S4_S4_S4_S4_S4_
                                        ; -- End function
	.section	.AMDGPU.csdata,"",@progbits
; Kernel info:
; codeLenInByte = 6016
; NumSgprs: 33
; NumVgprs: 66
; NumAgprs: 0
; TotalNumVgprs: 66
; ScratchSize: 0
; MemoryBound: 0
; FloatMode: 240
; IeeeMode: 1
; LDSByteSize: 0 bytes/workgroup (compile time only)
; SGPRBlocks: 4
; VGPRBlocks: 8
; NumSGPRsForWavesPerEU: 33
; NumVGPRsForWavesPerEU: 66
; AccumOffset: 68
; Occupancy: 7
; WaveLimiterHint : 0
; COMPUTE_PGM_RSRC2:SCRATCH_EN: 0
; COMPUTE_PGM_RSRC2:USER_SGPR: 6
; COMPUTE_PGM_RSRC2:TRAP_HANDLER: 0
; COMPUTE_PGM_RSRC2:TGID_X_EN: 1
; COMPUTE_PGM_RSRC2:TGID_Y_EN: 0
; COMPUTE_PGM_RSRC2:TGID_Z_EN: 0
; COMPUTE_PGM_RSRC2:TIDIG_COMP_CNT: 0
; COMPUTE_PGM_RSRC3_GFX90A:ACCUM_OFFSET: 16
; COMPUTE_PGM_RSRC3_GFX90A:TG_SPLIT: 0
	.section	.text._ZN9rocsparseL19gpsv_strided_gatherILj256E21rocsparse_complex_numIdEEEviiiPKT0_PS3_,"axG",@progbits,_ZN9rocsparseL19gpsv_strided_gatherILj256E21rocsparse_complex_numIdEEEviiiPKT0_PS3_,comdat
	.globl	_ZN9rocsparseL19gpsv_strided_gatherILj256E21rocsparse_complex_numIdEEEviiiPKT0_PS3_ ; -- Begin function _ZN9rocsparseL19gpsv_strided_gatherILj256E21rocsparse_complex_numIdEEEviiiPKT0_PS3_
	.p2align	8
	.type	_ZN9rocsparseL19gpsv_strided_gatherILj256E21rocsparse_complex_numIdEEEviiiPKT0_PS3_,@function
_ZN9rocsparseL19gpsv_strided_gatherILj256E21rocsparse_complex_numIdEEEviiiPKT0_PS3_: ; @_ZN9rocsparseL19gpsv_strided_gatherILj256E21rocsparse_complex_numIdEEEviiiPKT0_PS3_
; %bb.0:
	s_load_dword s7, s[4:5], 0x2c
	s_load_dwordx4 s[0:3], s[4:5], 0x0
	s_waitcnt lgkmcnt(0)
	s_and_b32 s3, s7, 0xffff
	s_mul_i32 s6, s6, s3
	s_cmp_gt_i32 s0, 0
	v_add_u32_e32 v0, s6, v0
	v_cmp_gt_i32_e32 vcc, s1, v0
	s_cselect_b64 s[6:7], -1, 0
	s_and_b64 s[6:7], vcc, s[6:7]
	s_and_saveexec_b64 s[8:9], s[6:7]
	s_cbranch_execz .LBB9_3
; %bb.1:
	s_load_dwordx4 s[4:7], s[4:5], 0x10
	v_mov_b32_e32 v2, v0
	s_waitcnt lgkmcnt(0)
	v_mov_b32_e32 v4, s5
	v_mov_b32_e32 v5, s7
.LBB9_2:                                ; =>This Inner Loop Header: Depth=1
	v_ashrrev_i32_e32 v1, 31, v0
	v_lshlrev_b64 v[6:7], 4, v[0:1]
	v_add_co_u32_e32 v6, vcc, s4, v6
	v_addc_co_u32_e32 v7, vcc, v4, v7, vcc
	global_load_dwordx4 v[6:9], v[6:7], off
	v_ashrrev_i32_e32 v3, 31, v2
	v_lshlrev_b64 v[10:11], 4, v[2:3]
	s_add_i32 s0, s0, -1
	v_add_co_u32_e32 v10, vcc, s6, v10
	v_add_u32_e32 v2, s1, v2
	s_cmp_lg_u32 s0, 0
	v_addc_co_u32_e32 v11, vcc, v5, v11, vcc
	v_add_u32_e32 v0, s2, v0
	s_waitcnt vmcnt(0)
	global_store_dwordx4 v[10:11], v[6:9], off
	s_cbranch_scc1 .LBB9_2
.LBB9_3:
	s_endpgm
	.section	.rodata,"a",@progbits
	.p2align	6, 0x0
	.amdhsa_kernel _ZN9rocsparseL19gpsv_strided_gatherILj256E21rocsparse_complex_numIdEEEviiiPKT0_PS3_
		.amdhsa_group_segment_fixed_size 0
		.amdhsa_private_segment_fixed_size 0
		.amdhsa_kernarg_size 288
		.amdhsa_user_sgpr_count 6
		.amdhsa_user_sgpr_private_segment_buffer 1
		.amdhsa_user_sgpr_dispatch_ptr 0
		.amdhsa_user_sgpr_queue_ptr 0
		.amdhsa_user_sgpr_kernarg_segment_ptr 1
		.amdhsa_user_sgpr_dispatch_id 0
		.amdhsa_user_sgpr_flat_scratch_init 0
		.amdhsa_user_sgpr_kernarg_preload_length 0
		.amdhsa_user_sgpr_kernarg_preload_offset 0
		.amdhsa_user_sgpr_private_segment_size 0
		.amdhsa_uses_dynamic_stack 0
		.amdhsa_system_sgpr_private_segment_wavefront_offset 0
		.amdhsa_system_sgpr_workgroup_id_x 1
		.amdhsa_system_sgpr_workgroup_id_y 0
		.amdhsa_system_sgpr_workgroup_id_z 0
		.amdhsa_system_sgpr_workgroup_info 0
		.amdhsa_system_vgpr_workitem_id 0
		.amdhsa_next_free_vgpr 12
		.amdhsa_next_free_sgpr 10
		.amdhsa_accum_offset 12
		.amdhsa_reserve_vcc 1
		.amdhsa_reserve_flat_scratch 0
		.amdhsa_float_round_mode_32 0
		.amdhsa_float_round_mode_16_64 0
		.amdhsa_float_denorm_mode_32 3
		.amdhsa_float_denorm_mode_16_64 3
		.amdhsa_dx10_clamp 1
		.amdhsa_ieee_mode 1
		.amdhsa_fp16_overflow 0
		.amdhsa_tg_split 0
		.amdhsa_exception_fp_ieee_invalid_op 0
		.amdhsa_exception_fp_denorm_src 0
		.amdhsa_exception_fp_ieee_div_zero 0
		.amdhsa_exception_fp_ieee_overflow 0
		.amdhsa_exception_fp_ieee_underflow 0
		.amdhsa_exception_fp_ieee_inexact 0
		.amdhsa_exception_int_div_zero 0
	.end_amdhsa_kernel
	.section	.text._ZN9rocsparseL19gpsv_strided_gatherILj256E21rocsparse_complex_numIdEEEviiiPKT0_PS3_,"axG",@progbits,_ZN9rocsparseL19gpsv_strided_gatherILj256E21rocsparse_complex_numIdEEEviiiPKT0_PS3_,comdat
.Lfunc_end9:
	.size	_ZN9rocsparseL19gpsv_strided_gatherILj256E21rocsparse_complex_numIdEEEviiiPKT0_PS3_, .Lfunc_end9-_ZN9rocsparseL19gpsv_strided_gatherILj256E21rocsparse_complex_numIdEEEviiiPKT0_PS3_
                                        ; -- End function
	.section	.AMDGPU.csdata,"",@progbits
; Kernel info:
; codeLenInByte = 168
; NumSgprs: 14
; NumVgprs: 12
; NumAgprs: 0
; TotalNumVgprs: 12
; ScratchSize: 0
; MemoryBound: 0
; FloatMode: 240
; IeeeMode: 1
; LDSByteSize: 0 bytes/workgroup (compile time only)
; SGPRBlocks: 1
; VGPRBlocks: 1
; NumSGPRsForWavesPerEU: 14
; NumVGPRsForWavesPerEU: 12
; AccumOffset: 12
; Occupancy: 8
; WaveLimiterHint : 0
; COMPUTE_PGM_RSRC2:SCRATCH_EN: 0
; COMPUTE_PGM_RSRC2:USER_SGPR: 6
; COMPUTE_PGM_RSRC2:TRAP_HANDLER: 0
; COMPUTE_PGM_RSRC2:TGID_X_EN: 1
; COMPUTE_PGM_RSRC2:TGID_Y_EN: 0
; COMPUTE_PGM_RSRC2:TGID_Z_EN: 0
; COMPUTE_PGM_RSRC2:TIDIG_COMP_CNT: 0
; COMPUTE_PGM_RSRC3_GFX90A:ACCUM_OFFSET: 2
; COMPUTE_PGM_RSRC3_GFX90A:TG_SPLIT: 0
	.section	.text._ZN9rocsparseL44gpsv_interleaved_batch_householder_qr_kernelILj256E21rocsparse_complex_numIdEEEviiiPT0_S4_S4_S4_S4_S4_S4_S4_S4_,"axG",@progbits,_ZN9rocsparseL44gpsv_interleaved_batch_householder_qr_kernelILj256E21rocsparse_complex_numIdEEEviiiPT0_S4_S4_S4_S4_S4_S4_S4_S4_,comdat
	.globl	_ZN9rocsparseL44gpsv_interleaved_batch_householder_qr_kernelILj256E21rocsparse_complex_numIdEEEviiiPT0_S4_S4_S4_S4_S4_S4_S4_S4_ ; -- Begin function _ZN9rocsparseL44gpsv_interleaved_batch_householder_qr_kernelILj256E21rocsparse_complex_numIdEEEviiiPT0_S4_S4_S4_S4_S4_S4_S4_S4_
	.p2align	8
	.type	_ZN9rocsparseL44gpsv_interleaved_batch_householder_qr_kernelILj256E21rocsparse_complex_numIdEEEviiiPT0_S4_S4_S4_S4_S4_S4_S4_S4_,@function
_ZN9rocsparseL44gpsv_interleaved_batch_householder_qr_kernelILj256E21rocsparse_complex_numIdEEEviiiPT0_S4_S4_S4_S4_S4_S4_S4_S4_: ; @_ZN9rocsparseL44gpsv_interleaved_batch_householder_qr_kernelILj256E21rocsparse_complex_numIdEEEviiiPT0_S4_S4_S4_S4_S4_S4_S4_S4_
; %bb.0:
	s_load_dword s0, s[4:5], 0x64
	s_load_dwordx4 s[8:11], s[4:5], 0x0
	s_waitcnt lgkmcnt(0)
	s_and_b32 s0, s0, 0xffff
	s_mul_i32 s11, s6, s0
	v_add_u32_e32 v1, s11, v0
	v_cmp_gt_i32_e32 vcc, s9, v1
	s_and_saveexec_b64 s[0:1], vcc
	s_cbranch_execz .LBB10_28
; %bb.1:
	s_load_dwordx2 s[6:7], s[4:5], 0x50
	s_load_dwordx4 s[12:15], s[4:5], 0x40
	s_load_dwordx4 s[16:19], s[4:5], 0x20
	s_load_dwordx2 s[24:25], s[4:5], 0x30
	s_add_i32 s33, s8, -1
	s_cmp_lt_i32 s8, 2
	s_cbranch_scc1 .LBB10_15
; %bb.2:
	s_load_dwordx4 s[20:23], s[4:5], 0x10
	s_mov_b32 s26, 0
	s_mov_b32 s28, 0
	v_add_u32_e32 v1, s9, v0
	v_lshl_add_u32 v116, s9, 1, v0
	v_add_u32_e32 v117, s10, v0
	v_lshl_add_u32 v118, s10, 1, v0
	s_waitcnt lgkmcnt(0)
	v_mov_b32_e32 v119, s23
	v_mov_b32_e32 v120, s17
	;; [unrolled: 1-line block ×5, first 2 shown]
	s_brev_b32 s27, 8
	v_mov_b32_e32 v124, 0x260
	s_brev_b32 s29, 1
	v_mov_b32_e32 v125, 0xffffff80
	v_mov_b32_e32 v126, v0
	s_mov_b32 s38, s33
	v_mov_b32_e32 v127, v0
	s_branch .LBB10_4
.LBB10_3:                               ;   in Loop: Header=BB10_4 Depth=1
	s_or_b64 exec, exec, s[34:35]
	s_add_i32 s38, s38, -1
	v_add_u32_e32 v1, s9, v1
	v_add_u32_e32 v116, s9, v116
	;; [unrolled: 1-line block ×5, first 2 shown]
	s_cmp_eq_u32 s38, 0
	v_add_u32_e32 v126, s10, v126
	s_cbranch_scc1 .LBB10_15
.LBB10_4:                               ; =>This Inner Loop Header: Depth=1
	s_waitcnt vmcnt(0)
	v_add_u32_e32 v2, s11, v117
	v_ashrrev_i32_e32 v3, 31, v2
	v_lshlrev_b64 v[2:3], 4, v[2:3]
	v_add_co_u32_e32 v84, vcc, s22, v2
	v_addc_co_u32_e32 v85, vcc, v119, v3, vcc
	v_add_co_u32_e32 v86, vcc, s16, v2
	v_addc_co_u32_e32 v87, vcc, v120, v3, vcc
	v_add_co_u32_e32 v88, vcc, s18, v2
	v_add_u32_e32 v4, s11, v1
	v_addc_co_u32_e32 v89, vcc, v121, v3, vcc
	v_add_co_u32_e32 v90, vcc, s24, v2
	v_ashrrev_i32_e32 v5, 31, v4
	v_addc_co_u32_e32 v91, vcc, v122, v3, vcc
	v_lshlrev_b64 v[66:67], 4, v[4:5]
	v_add_co_u32_e32 v80, vcc, s6, v66
	global_load_dwordx4 v[38:41], v[84:85], off
	global_load_dwordx4 v[26:29], v[86:87], off
	v_addc_co_u32_e32 v81, vcc, v123, v67, vcc
	global_load_dwordx4 v[34:37], v[88:89], off
	global_load_dwordx4 v[30:33], v[90:91], off
	;; [unrolled: 1-line block ×3, first 2 shown]
	s_cmp_lg_u32 s38, 1
	v_pk_mov_b32 v[2:3], 0, 0
	s_cselect_b64 s[30:31], -1, 0
	s_cmp_eq_u32 s38, 1
	v_add_u32_e32 v82, s11, v118
	v_add_u32_e32 v78, s11, v116
	v_pk_mov_b32 v[4:5], v[2:3], v[2:3] op_sel:[0,1]
	v_pk_mov_b32 v[6:7], v[2:3], v[2:3] op_sel:[0,1]
	;; [unrolled: 1-line block ×11, first 2 shown]
	s_cbranch_scc1 .LBB10_6
; %bb.5:                                ;   in Loop: Header=BB10_4 Depth=1
	v_ashrrev_i32_e32 v83, 31, v82
	v_lshlrev_b64 v[2:3], 4, v[82:83]
	v_mov_b32_e32 v5, s21
	v_add_co_u32_e32 v4, vcc, s20, v2
	v_addc_co_u32_e32 v5, vcc, v5, v3, vcc
	global_load_dwordx4 v[46:49], v[4:5], off
	v_mov_b32_e32 v5, s23
	v_add_co_u32_e32 v4, vcc, s22, v2
	v_addc_co_u32_e32 v5, vcc, v5, v3, vcc
	global_load_dwordx4 v[22:25], v[4:5], off
	;; [unrolled: 4-line block ×4, first 2 shown]
	v_mov_b32_e32 v4, s25
	v_add_co_u32_e32 v2, vcc, s24, v2
	v_addc_co_u32_e32 v3, vcc, v4, v3, vcc
	v_ashrrev_i32_e32 v79, 31, v78
	global_load_dwordx4 v[6:9], v[2:3], off
	v_lshlrev_b64 v[2:3], 4, v[78:79]
	v_mov_b32_e32 v4, s7
	v_add_co_u32_e32 v2, vcc, s6, v2
	v_addc_co_u32_e32 v3, vcc, v4, v3, vcc
	global_load_dwordx4 v[2:5], v[2:3], off
.LBB10_6:                               ;   in Loop: Header=BB10_4 Depth=1
	s_waitcnt vmcnt(5)
	v_mul_f64 v[42:43], v[48:49], -v[48:49]
	v_mul_f64 v[58:59], v[46:47], v[48:49]
	v_fmac_f64_e32 v[42:43], v[46:47], v[46:47]
	v_fmac_f64_e32 v[58:59], v[48:49], v[46:47]
	s_waitcnt vmcnt(4)
	v_fmac_f64_e32 v[42:43], v[38:39], v[38:39]
	v_fmac_f64_e32 v[58:59], v[40:41], v[38:39]
	v_fma_f64 v[60:61], -v[40:41], v[40:41], v[42:43]
	v_fmac_f64_e32 v[58:59], v[38:39], v[40:41]
	v_cmp_neq_f64_e32 vcc, 0, v[60:61]
	v_cmp_neq_f64_e64 s[0:1], 0, v[58:59]
	s_or_b64 s[0:1], vcc, s[0:1]
	s_and_saveexec_b64 s[34:35], s[0:1]
	s_cbranch_execz .LBB10_3
; %bb.7:                                ;   in Loop: Header=BB10_4 Depth=1
	v_add_u32_e32 v42, s11, v126
	v_ashrrev_i32_e32 v43, 31, v42
	v_lshlrev_b64 v[62:63], 4, v[42:43]
	v_mov_b32_e32 v42, s17
	v_add_co_u32_e32 v92, vcc, s16, v62
	v_addc_co_u32_e32 v93, vcc, v42, v63, vcc
	global_load_dwordx4 v[42:45], v[92:93], off
	s_waitcnt vmcnt(0)
	v_fma_f64 v[50:51], v[42:43], v[42:43], v[60:61]
	v_fma_f64 v[64:65], v[44:45], v[42:43], v[58:59]
	v_fma_f64 v[50:51], -v[44:45], v[44:45], v[50:51]
	v_fmac_f64_e32 v[64:65], v[42:43], v[44:45]
	v_xor_b32_e32 v52, 0x80000000, v51
	v_xor_b32_e32 v53, 0x80000000, v65
	v_cmp_gt_f64_e32 vcc, 0, v[50:51]
	v_cmp_gt_f64_e64 s[0:1], 0, v[64:65]
	v_cndmask_b32_e32 v55, v51, v52, vcc
	v_cndmask_b32_e32 v54, v50, v50, vcc
	v_cndmask_b32_e64 v57, v65, v53, s[0:1]
	v_cndmask_b32_e64 v56, v64, v64, s[0:1]
	v_cmp_ngt_f64_e32 vcc, v[54:55], v[56:57]
                                        ; implicit-def: $vgpr52_vgpr53
	s_and_saveexec_b64 s[2:3], vcc
	s_xor_b64 s[2:3], exec, s[2:3]
	s_cbranch_execz .LBB10_11
; %bb.8:                                ;   in Loop: Header=BB10_4 Depth=1
	v_cmp_neq_f64_e32 vcc, 0, v[64:65]
	v_pk_mov_b32 v[52:53], 0, 0
	s_and_saveexec_b64 s[36:37], vcc
	s_cbranch_execz .LBB10_10
; %bb.9:                                ;   in Loop: Header=BB10_4 Depth=1
	v_div_scale_f64 v[52:53], s[40:41], v[56:57], v[56:57], v[54:55]
	v_rcp_f64_e32 v[64:65], v[52:53]
	v_div_scale_f64 v[68:69], vcc, v[54:55], v[56:57], v[54:55]
	v_fma_f64 v[70:71], -v[52:53], v[64:65], 1.0
	v_fmac_f64_e32 v[64:65], v[64:65], v[70:71]
	v_fma_f64 v[70:71], -v[52:53], v[64:65], 1.0
	v_fmac_f64_e32 v[64:65], v[64:65], v[70:71]
	v_mul_f64 v[70:71], v[68:69], v[64:65]
	v_fma_f64 v[52:53], -v[52:53], v[70:71], v[68:69]
	v_div_fmas_f64 v[52:53], v[52:53], v[64:65], v[70:71]
	v_div_fixup_f64 v[52:53], v[52:53], v[56:57], v[54:55]
	v_fma_f64 v[52:53], v[52:53], v[52:53], 1.0
	v_cmp_gt_f64_e32 vcc, s[26:27], v[52:53]
	v_cndmask_b32_e64 v54, 0, 1, vcc
	v_lshlrev_b32_e32 v54, 8, v54
	v_ldexp_f64 v[52:53], v[52:53], v54
	v_rsq_f64_e32 v[54:55], v[52:53]
	v_mul_f64 v[64:65], v[52:53], v[54:55]
	v_mul_f64 v[54:55], v[54:55], 0.5
	v_fma_f64 v[68:69], -v[54:55], v[64:65], 0.5
	v_fmac_f64_e32 v[64:65], v[64:65], v[68:69]
	v_fma_f64 v[70:71], -v[64:65], v[64:65], v[52:53]
	v_fmac_f64_e32 v[54:55], v[54:55], v[68:69]
	v_fmac_f64_e32 v[64:65], v[70:71], v[54:55]
	v_fma_f64 v[68:69], -v[64:65], v[64:65], v[52:53]
	v_fmac_f64_e32 v[64:65], v[68:69], v[54:55]
	v_cndmask_b32_e32 v54, 0, v125, vcc
	v_ldexp_f64 v[54:55], v[64:65], v54
	v_cmp_class_f64_e32 vcc, v[52:53], v124
	v_cndmask_b32_e32 v53, v55, v53, vcc
	v_cndmask_b32_e32 v52, v54, v52, vcc
	v_mul_f64 v[52:53], v[56:57], v[52:53]
.LBB10_10:                              ;   in Loop: Header=BB10_4 Depth=1
	s_or_b64 exec, exec, s[36:37]
                                        ; implicit-def: $vgpr54_vgpr55
                                        ; implicit-def: $vgpr56_vgpr57
.LBB10_11:                              ;   in Loop: Header=BB10_4 Depth=1
	s_andn2_saveexec_b64 s[2:3], s[2:3]
	s_cbranch_execz .LBB10_13
; %bb.12:                               ;   in Loop: Header=BB10_4 Depth=1
	v_div_scale_f64 v[52:53], s[36:37], v[54:55], v[54:55], v[56:57]
	v_rcp_f64_e32 v[64:65], v[52:53]
	v_div_scale_f64 v[68:69], vcc, v[56:57], v[54:55], v[56:57]
	v_fma_f64 v[70:71], -v[52:53], v[64:65], 1.0
	v_fmac_f64_e32 v[64:65], v[64:65], v[70:71]
	v_fma_f64 v[70:71], -v[52:53], v[64:65], 1.0
	v_fmac_f64_e32 v[64:65], v[64:65], v[70:71]
	v_mul_f64 v[70:71], v[68:69], v[64:65]
	v_fma_f64 v[52:53], -v[52:53], v[70:71], v[68:69]
	v_div_fmas_f64 v[52:53], v[52:53], v[64:65], v[70:71]
	v_div_fixup_f64 v[52:53], v[52:53], v[54:55], v[56:57]
	v_fma_f64 v[52:53], v[52:53], v[52:53], 1.0
	v_cmp_gt_f64_e32 vcc, s[26:27], v[52:53]
	v_cndmask_b32_e64 v56, 0, 1, vcc
	v_lshlrev_b32_e32 v56, 8, v56
	v_ldexp_f64 v[52:53], v[52:53], v56
	v_rsq_f64_e32 v[56:57], v[52:53]
	v_mul_f64 v[64:65], v[52:53], v[56:57]
	v_mul_f64 v[56:57], v[56:57], 0.5
	v_fma_f64 v[68:69], -v[56:57], v[64:65], 0.5
	v_fmac_f64_e32 v[64:65], v[64:65], v[68:69]
	v_fma_f64 v[70:71], -v[64:65], v[64:65], v[52:53]
	v_fmac_f64_e32 v[56:57], v[56:57], v[68:69]
	v_fmac_f64_e32 v[64:65], v[70:71], v[56:57]
	v_fma_f64 v[68:69], -v[64:65], v[64:65], v[52:53]
	v_fmac_f64_e32 v[64:65], v[68:69], v[56:57]
	v_cndmask_b32_e32 v56, 0, v125, vcc
	v_ldexp_f64 v[56:57], v[64:65], v56
	v_cmp_class_f64_e32 vcc, v[52:53], v124
	v_cndmask_b32_e32 v53, v57, v53, vcc
	v_cndmask_b32_e32 v52, v56, v52, vcc
	v_mul_f64 v[52:53], v[54:55], v[52:53]
.LBB10_13:                              ;   in Loop: Header=BB10_4 Depth=1
	s_or_b64 exec, exec, s[2:3]
	v_add_f64 v[54:55], v[50:51], v[52:53]
	v_mul_f64 v[54:55], v[54:55], 0.5
	v_cmp_gt_f64_e32 vcc, s[26:27], v[54:55]
	v_cndmask_b32_e64 v56, 0, 1, vcc
	v_lshlrev_b32_e32 v56, 8, v56
	v_ldexp_f64 v[54:55], v[54:55], v56
	v_rsq_f64_e32 v[56:57], v[54:55]
	v_add_f64 v[50:51], v[52:53], -v[50:51]
	v_mul_f64 v[50:51], v[50:51], 0.5
	v_cmp_class_f64_e64 s[2:3], v[54:55], v124
	v_mul_f64 v[64:65], v[54:55], v[56:57]
	v_mul_f64 v[56:57], v[56:57], 0.5
	v_fma_f64 v[68:69], -v[56:57], v[64:65], 0.5
	v_fmac_f64_e32 v[64:65], v[64:65], v[68:69]
	v_fmac_f64_e32 v[56:57], v[56:57], v[68:69]
	v_fma_f64 v[68:69], -v[64:65], v[64:65], v[54:55]
	v_fmac_f64_e32 v[64:65], v[68:69], v[56:57]
	v_fma_f64 v[68:69], -v[64:65], v[64:65], v[54:55]
	v_fmac_f64_e32 v[64:65], v[68:69], v[56:57]
	v_cndmask_b32_e32 v56, 0, v125, vcc
	v_cmp_gt_f64_e32 vcc, s[26:27], v[50:51]
	v_cndmask_b32_e64 v52, 0, 1, vcc
	v_lshlrev_b32_e32 v52, 8, v52
	v_ldexp_f64 v[50:51], v[50:51], v52
	v_rsq_f64_e32 v[52:53], v[50:51]
	v_ldexp_f64 v[56:57], v[64:65], v56
	v_cndmask_b32_e64 v54, v56, v54, s[2:3]
	v_cndmask_b32_e64 v55, v57, v55, s[2:3]
	v_mul_f64 v[56:57], v[50:51], v[52:53]
	v_mul_f64 v[52:53], v[52:53], 0.5
	v_fma_f64 v[64:65], -v[52:53], v[56:57], 0.5
	v_fmac_f64_e32 v[56:57], v[56:57], v[64:65]
	v_fma_f64 v[68:69], -v[56:57], v[56:57], v[50:51]
	v_fmac_f64_e32 v[52:53], v[52:53], v[64:65]
	v_fmac_f64_e32 v[56:57], v[68:69], v[52:53]
	v_fma_f64 v[64:65], -v[56:57], v[56:57], v[50:51]
	v_fmac_f64_e32 v[56:57], v[64:65], v[52:53]
	v_cndmask_b32_e32 v52, 0, v125, vcc
	v_ldexp_f64 v[52:53], v[56:57], v52
	v_cmp_class_f64_e32 vcc, v[50:51], v124
	v_cndmask_b32_e32 v51, v53, v51, vcc
	v_cndmask_b32_e32 v50, v52, v50, vcc
	v_xor_b32_e32 v52, 0x80000000, v51
	v_cndmask_b32_e64 v51, v51, v52, s[0:1]
	v_xor_b32_e32 v52, 0x80000000, v55
	v_cmp_lt_f64_e32 vcc, 0, v[42:43]
	v_cndmask_b32_e32 v55, v52, v55, vcc
	v_xor_b32_e32 v52, 0x80000000, v51
	v_cndmask_b32_e32 v51, v52, v51, vcc
	v_add_f64 v[68:69], v[44:45], v[50:51]
	v_add_f64 v[64:65], v[42:43], v[54:55]
	v_mul_f64 v[50:51], v[68:69], v[68:69]
	v_fmac_f64_e32 v[50:51], v[64:65], v[64:65]
	v_div_scale_f64 v[52:53], s[0:1], v[50:51], v[50:51], 1.0
	v_rcp_f64_e32 v[54:55], v[52:53]
	v_mul_f64 v[74:75], v[64:65], v[68:69]
	v_fmac_f64_e32 v[74:75], v[68:69], v[64:65]
	v_add_f64 v[58:59], v[58:59], v[74:75]
	v_fma_f64 v[56:57], -v[52:53], v[54:55], 1.0
	v_fmac_f64_e32 v[54:55], v[54:55], v[56:57]
	v_fma_f64 v[56:57], -v[52:53], v[54:55], 1.0
	v_fmac_f64_e32 v[54:55], v[54:55], v[56:57]
	v_div_scale_f64 v[56:57], vcc, 1.0, v[50:51], 1.0
	v_mul_f64 v[72:73], v[56:57], v[54:55]
	v_fma_f64 v[52:53], -v[52:53], v[72:73], v[56:57]
	v_add_u32_e32 v70, s11, v127
	s_nop 0
	v_div_fmas_f64 v[52:53], v[52:53], v[54:55], v[72:73]
	v_div_fixup_f64 v[52:53], v[52:53], v[50:51], 1.0
	v_mul_f64 v[50:51], v[40:41], v[68:69]
	v_fmac_f64_e32 v[50:51], v[38:39], v[64:65]
	v_mul_f64 v[54:55], v[50:51], v[52:53]
	v_mul_f64 v[50:51], v[68:69], -v[38:39]
	v_fmac_f64_e32 v[50:51], v[40:41], v[64:65]
	v_mul_f64 v[56:57], v[50:51], v[52:53]
	v_mul_f64 v[50:51], v[48:49], v[68:69]
	v_mul_f64 v[72:73], v[68:69], -v[46:47]
	v_fmac_f64_e32 v[50:51], v[46:47], v[64:65]
	v_fmac_f64_e32 v[72:73], v[48:49], v[64:65]
	v_mul_f64 v[50:51], v[50:51], v[52:53]
	v_mul_f64 v[52:53], v[72:73], v[52:53]
	v_mul_f64 v[72:73], v[68:69], -v[68:69]
	v_fmac_f64_e32 v[72:73], v[64:65], v[64:65]
	v_add_f64 v[76:77], v[60:61], v[72:73]
	v_mul_f64 v[60:61], v[58:59], v[58:59]
	v_fmac_f64_e32 v[60:61], v[76:77], v[76:77]
	v_ashrrev_i32_e32 v71, 31, v70
	v_div_scale_f64 v[68:69], s[0:1], v[60:61], v[60:61], 1.0
	v_lshlrev_b64 v[102:103], 4, v[70:71]
	v_mov_b32_e32 v70, s13
	v_add_co_u32_e64 v112, s[0:1], s12, v102
	v_addc_co_u32_e64 v113, s[0:1], v70, v103, s[0:1]
	global_load_dwordx4 v[108:111], v[112:113], off
	v_rcp_f64_e32 v[94:95], v[68:69]
	v_mul_f64 v[64:65], v[74:75], s[28:29]
	v_add_f64 v[74:75], v[74:75], v[74:75]
	v_fmac_f64_e32 v[64:65], 2.0, v[72:73]
	v_fmac_f64_e32 v[74:75], 0, v[72:73]
	v_fma_f64 v[72:73], -v[68:69], v[94:95], 1.0
	v_fmac_f64_e32 v[94:95], v[94:95], v[72:73]
	v_fma_f64 v[72:73], -v[68:69], v[94:95], 1.0
	v_fma_f64 v[130:131], v[56:57], v[54:55], 0
	v_fmac_f64_e32 v[94:95], v[94:95], v[72:73]
	v_div_scale_f64 v[72:73], vcc, 1.0, v[60:61], 1.0
	v_mul_f64 v[104:105], v[58:59], v[74:75]
	v_mul_f64 v[114:115], v[58:59], -v[64:65]
	v_fma_f64 v[58:59], v[54:55], v[54:55], 1.0
	v_fmac_f64_e32 v[130:131], v[54:55], v[56:57]
	v_mul_f64 v[96:97], v[72:73], v[94:95]
	v_fma_f64 v[128:129], -v[56:57], v[56:57], v[58:59]
	v_fmac_f64_e32 v[130:131], v[52:53], v[50:51]
	v_fma_f64 v[68:69], -v[68:69], v[96:97], v[72:73]
	v_fmac_f64_e32 v[128:129], v[50:51], v[50:51]
	v_fmac_f64_e32 v[130:131], v[50:51], v[52:53]
	v_div_fmas_f64 v[68:69], v[68:69], v[94:95], v[96:97]
	v_mov_b32_e32 v58, s19
	v_add_co_u32_e32 v96, vcc, s18, v62
	v_fma_f64 v[128:129], -v[52:53], v[52:53], v[128:129]
	v_mul_f64 v[132:133], v[130:131], v[130:131]
	v_addc_co_u32_e32 v97, vcc, v58, v63, vcc
	v_fmac_f64_e32 v[132:133], v[128:129], v[128:129]
	v_fmac_f64_e32 v[104:105], v[64:65], v[76:77]
	v_mov_b32_e32 v64, s25
	v_add_co_u32_e32 v98, vcc, s24, v62
	v_div_scale_f64 v[134:135], s[0:1], v[132:133], v[132:133], 1.0
	v_addc_co_u32_e32 v99, vcc, v64, v63, vcc
	v_rcp_f64_e32 v[136:137], v[134:135]
	v_add_co_u32_e32 v94, vcc, s12, v66
	v_div_fixup_f64 v[106:107], v[68:69], v[60:61], 1.0
	global_load_dwordx4 v[58:61], v[96:97], off
	v_addc_co_u32_e32 v95, vcc, v70, v67, vcc
	v_mov_b32_e32 v66, s15
	v_add_co_u32_e32 v100, vcc, s14, v102
	v_addc_co_u32_e32 v101, vcc, v66, v103, vcc
	v_fmac_f64_e32 v[114:115], v[74:75], v[76:77]
	v_fma_f64 v[74:75], -v[134:135], v[136:137], 1.0
	v_fmac_f64_e32 v[136:137], v[136:137], v[74:75]
	v_mov_b32_e32 v74, s7
	v_add_co_u32_e32 v102, vcc, s6, v102
	v_mul_f64 v[104:105], v[106:107], v[104:105]
	v_mul_f64 v[106:107], v[106:107], v[114:115]
	v_addc_co_u32_e32 v103, vcc, v74, v103, vcc
	v_fma_f64 v[114:115], -v[134:135], v[136:137], 1.0
	global_load_dwordx4 v[62:65], v[98:99], off
	global_load_dwordx4 v[70:73], v[94:95], off
	;; [unrolled: 1-line block ×3, first 2 shown]
	v_fmac_f64_e32 v[136:137], v[136:137], v[114:115]
	v_div_scale_f64 v[114:115], vcc, 1.0, v[132:133], 1.0
	v_mul_f64 v[138:139], v[114:115], v[136:137]
	v_fma_f64 v[114:115], -v[134:135], v[138:139], v[114:115]
	global_load_dwordx4 v[74:77], v[102:103], off
	s_nop 0
	v_div_fmas_f64 v[114:115], v[114:115], v[136:137], v[138:139]
	v_div_fixup_f64 v[114:115], v[114:115], v[132:133], 1.0
	v_mul_f64 v[132:133], v[130:131], 0
	v_mul_f64 v[130:131], v[130:131], -2.0
	v_fmac_f64_e32 v[132:133], 2.0, v[128:129]
	v_fmac_f64_e32 v[130:131], 0, v[128:129]
	v_mul_f64 v[132:133], v[132:133], v[114:115]
	v_mul_f64 v[134:135], v[130:131], v[114:115]
	v_fma_f64 v[114:115], v[54:55], v[38:39], v[42:43]
	v_fma_f64 v[114:115], -v[56:57], v[40:41], v[114:115]
	v_fma_f64 v[38:39], v[56:57], v[38:39], v[44:45]
	v_fmac_f64_e32 v[38:39], v[54:55], v[40:41]
	v_fmac_f64_e32 v[114:115], v[50:51], v[46:47]
	v_fma_f64 v[40:41], -v[52:53], v[48:49], v[114:115]
	v_fmac_f64_e32 v[38:39], v[52:53], v[46:47]
	v_fmac_f64_e32 v[38:39], v[50:51], v[48:49]
	v_mul_f64 v[138:139], v[106:107], v[40:41]
	s_waitcnt vmcnt(5)
	v_fma_f64 v[46:47], v[56:57], v[30:31], v[110:111]
	v_mul_f64 v[136:137], v[106:107], -v[38:39]
	v_fmac_f64_e32 v[138:139], v[38:39], v[104:105]
	v_fma_f64 v[38:39], v[54:55], v[30:31], v[108:109]
	v_fmac_f64_e32 v[46:47], v[54:55], v[32:33]
	v_fma_f64 v[38:39], -v[56:57], v[32:33], v[38:39]
	v_fmac_f64_e32 v[46:47], v[52:53], v[10:11]
	v_fmac_f64_e32 v[38:39], v[50:51], v[10:11]
	;; [unrolled: 1-line block ×4, first 2 shown]
	v_fma_f64 v[40:41], -v[52:53], v[12:13], v[38:39]
	v_mul_f64 v[38:39], v[106:107], -v[46:47]
	v_fmac_f64_e32 v[38:39], v[40:41], v[104:105]
	v_mul_f64 v[40:41], v[106:107], v[40:41]
	v_fmac_f64_e32 v[40:41], v[46:47], v[104:105]
	v_add_f64 v[46:47], v[108:109], -v[38:39]
	v_add_f64 v[48:49], v[110:111], -v[40:41]
	global_store_dwordx4 v[112:113], v[46:49], off
	global_load_dwordx4 v[128:131], v[94:95], off
	v_add_f64 v[42:43], v[42:43], -v[136:137]
	v_add_f64 v[44:45], v[44:45], -v[138:139]
	global_store_dwordx4 v[92:93], v[42:45], off
	s_andn2_b64 vcc, exec, s[30:31]
	s_waitcnt vmcnt(7)
	v_fma_f64 v[46:47], v[54:55], v[26:27], v[58:59]
	v_fma_f64 v[46:47], -v[56:57], v[28:29], v[46:47]
	v_fma_f64 v[48:49], v[56:57], v[26:27], v[60:61]
	v_fmac_f64_e32 v[48:49], v[54:55], v[28:29]
	v_fmac_f64_e32 v[46:47], v[50:51], v[22:23]
	v_fma_f64 v[46:47], -v[52:53], v[24:25], v[46:47]
	v_fmac_f64_e32 v[48:49], v[52:53], v[22:23]
	v_fmac_f64_e32 v[48:49], v[50:51], v[24:25]
	v_mul_f64 v[114:115], v[106:107], v[46:47]
	v_mul_f64 v[112:113], v[106:107], -v[48:49]
	v_fmac_f64_e32 v[114:115], v[48:49], v[104:105]
	v_fmac_f64_e32 v[112:113], v[46:47], v[104:105]
	v_add_f64 v[42:43], v[58:59], -v[112:113]
	v_add_f64 v[44:45], v[60:61], -v[114:115]
	global_store_dwordx4 v[96:97], v[42:45], off
	v_fma_f64 v[26:27], -v[112:113], v[54:55], v[26:27]
	v_fma_f64 v[28:29], -v[114:115], v[54:55], v[28:29]
	v_fmac_f64_e32 v[26:27], v[114:115], v[56:57]
	v_fma_f64 v[28:29], -v[112:113], v[56:57], v[28:29]
	s_waitcnt vmcnt(7)
	v_fma_f64 v[46:47], v[54:55], v[34:35], v[62:63]
	v_fma_f64 v[46:47], -v[56:57], v[36:37], v[46:47]
	s_waitcnt vmcnt(5)
	v_fma_f64 v[48:49], v[54:55], v[70:71], v[66:67]
	v_fma_f64 v[140:141], v[56:57], v[70:71], v[68:69]
	;; [unrolled: 1-line block ×3, first 2 shown]
	v_fmac_f64_e32 v[70:71], v[54:55], v[36:37]
	v_fmac_f64_e32 v[70:71], v[52:53], v[14:15]
	v_fma_f64 v[48:49], -v[56:57], v[72:73], v[48:49]
	v_fmac_f64_e32 v[140:141], v[54:55], v[72:73]
	v_fmac_f64_e32 v[46:47], v[50:51], v[14:15]
	;; [unrolled: 1-line block ×3, first 2 shown]
	v_fma_f64 v[46:47], -v[52:53], v[16:17], v[46:47]
	v_mul_f64 v[108:109], v[106:107], -v[70:71]
	v_fmac_f64_e32 v[48:49], v[50:51], v[6:7]
	v_fmac_f64_e32 v[140:141], v[52:53], v[6:7]
	v_fmac_f64_e32 v[108:109], v[46:47], v[104:105]
	v_mul_f64 v[110:111], v[106:107], v[46:47]
	v_fma_f64 v[46:47], -v[52:53], v[8:9], v[48:49]
	v_fmac_f64_e32 v[140:141], v[50:51], v[8:9]
	v_fmac_f64_e32 v[110:111], v[70:71], v[104:105]
	v_mul_f64 v[70:71], v[106:107], -v[140:141]
	v_mul_f64 v[72:73], v[106:107], v[46:47]
	v_fmac_f64_e32 v[70:71], v[46:47], v[104:105]
	v_fmac_f64_e32 v[72:73], v[140:141], v[104:105]
	s_waitcnt vmcnt(4)
	v_fma_f64 v[104:105], v[56:57], v[18:19], v[76:77]
	v_fma_f64 v[46:47], v[54:55], v[18:19], v[74:75]
	v_fmac_f64_e32 v[104:105], v[54:55], v[20:21]
	v_fma_f64 v[46:47], -v[56:57], v[20:21], v[46:47]
	v_fmac_f64_e32 v[104:105], v[52:53], v[2:3]
	v_fmac_f64_e32 v[46:47], v[50:51], v[2:3]
	;; [unrolled: 1-line block ×3, first 2 shown]
	v_fma_f64 v[48:49], -v[52:53], v[4:5], v[46:47]
	v_mul_f64 v[46:47], v[134:135], -v[104:105]
	v_fmac_f64_e32 v[46:47], v[48:49], v[132:133]
	v_mul_f64 v[48:49], v[48:49], v[134:135]
	v_add_f64 v[42:43], v[62:63], -v[108:109]
	v_add_f64 v[44:45], v[64:65], -v[110:111]
	v_fmac_f64_e32 v[48:49], v[104:105], v[132:133]
	global_store_dwordx4 v[98:99], v[42:45], off
	v_fma_f64 v[18:19], -v[54:55], v[46:47], v[18:19]
	v_add_f64 v[42:43], v[66:67], -v[70:71]
	v_add_f64 v[44:45], v[68:69], -v[72:73]
	global_store_dwordx4 v[100:101], v[42:45], off
	v_fma_f64 v[20:21], -v[56:57], v[46:47], v[20:21]
	v_add_f64 v[42:43], v[74:75], -v[46:47]
	v_add_f64 v[44:45], v[76:77], -v[48:49]
	global_store_dwordx4 v[102:103], v[42:45], off
	global_store_dwordx4 v[84:85], v[54:57], off
	;; [unrolled: 1-line block ×3, first 2 shown]
	v_fmac_f64_e32 v[18:19], v[56:57], v[48:49]
	v_fma_f64 v[26:27], -v[108:109], v[54:55], v[34:35]
	v_fma_f64 v[28:29], -v[110:111], v[54:55], v[36:37]
	v_fmac_f64_e32 v[26:27], v[110:111], v[56:57]
	v_fma_f64 v[28:29], -v[108:109], v[56:57], v[28:29]
	global_store_dwordx4 v[88:89], v[26:29], off
	v_fma_f64 v[20:21], -v[54:55], v[48:49], v[20:21]
	v_fma_f64 v[26:27], -v[38:39], v[54:55], v[30:31]
	v_fma_f64 v[28:29], -v[40:41], v[54:55], v[32:33]
	v_fmac_f64_e32 v[26:27], v[40:41], v[56:57]
	v_fma_f64 v[28:29], -v[38:39], v[56:57], v[28:29]
	global_store_dwordx4 v[90:91], v[26:29], off
	global_store_dwordx4 v[80:81], v[18:21], off
	s_waitcnt vmcnt(10)
	v_fma_f64 v[26:27], -v[70:71], v[54:55], v[128:129]
	v_fma_f64 v[28:29], -v[72:73], v[54:55], v[130:131]
	v_fmac_f64_e32 v[26:27], v[72:73], v[56:57]
	v_fma_f64 v[28:29], -v[70:71], v[56:57], v[28:29]
	global_store_dwordx4 v[94:95], v[26:29], off
	s_cbranch_vccnz .LBB10_3
; %bb.14:                               ;   in Loop: Header=BB10_4 Depth=1
	v_ashrrev_i32_e32 v83, 31, v82
	v_lshlrev_b64 v[26:27], 4, v[82:83]
	v_mov_b32_e32 v19, s21
	v_add_co_u32_e32 v18, vcc, s20, v26
	v_addc_co_u32_e32 v19, vcc, v19, v27, vcc
	global_store_dwordx4 v[18:19], v[50:53], off
	v_fma_f64 v[18:19], -v[112:113], v[50:51], v[22:23]
	v_fma_f64 v[20:21], -v[114:115], v[50:51], v[24:25]
	v_mov_b32_e32 v23, s23
	v_add_co_u32_e32 v22, vcc, s22, v26
	v_fmac_f64_e32 v[18:19], v[114:115], v[52:53]
	v_fma_f64 v[20:21], -v[112:113], v[52:53], v[20:21]
	v_addc_co_u32_e32 v23, vcc, v23, v27, vcc
	global_store_dwordx4 v[22:23], v[18:21], off
	v_fma_f64 v[14:15], -v[108:109], v[50:51], v[14:15]
	v_fma_f64 v[16:17], -v[110:111], v[50:51], v[16:17]
	v_mov_b32_e32 v19, s17
	v_add_co_u32_e32 v18, vcc, s16, v26
	v_fmac_f64_e32 v[14:15], v[110:111], v[52:53]
	v_fma_f64 v[16:17], -v[108:109], v[52:53], v[16:17]
	;; [unrolled: 8-line block ×4, first 2 shown]
	v_addc_co_u32_e32 v11, vcc, v11, v27, vcc
	v_ashrrev_i32_e32 v79, 31, v78
	global_store_dwordx4 v[10:11], v[6:9], off
	v_fma_f64 v[2:3], -v[50:51], v[46:47], v[2:3]
	v_lshlrev_b64 v[6:7], 4, v[78:79]
	v_fma_f64 v[4:5], -v[52:53], v[46:47], v[4:5]
	v_mov_b32_e32 v8, s7
	v_add_co_u32_e32 v6, vcc, s6, v6
	v_fmac_f64_e32 v[2:3], v[52:53], v[48:49]
	v_fma_f64 v[4:5], -v[50:51], v[48:49], v[4:5]
	v_addc_co_u32_e32 v7, vcc, v8, v7, vcc
	global_store_dwordx4 v[6:7], v[2:5], off
	s_branch .LBB10_3
.LBB10_15:
	s_cmp_lt_i32 s8, 1
	s_cbranch_scc1 .LBB10_28
; %bb.16:
	s_mul_i32 s2, s9, s33
	s_waitcnt vmcnt(1)
	v_add_u32_e32 v8, s2, v0
	s_add_i32 s2, s8, 3
	s_mul_i32 s2, s10, s2
	v_add_u32_e32 v9, s2, v0
	s_add_i32 s2, s8, 2
	s_mul_i32 s2, s10, s2
	s_load_dwordx2 s[0:1], s[4:5], 0x38
	v_add_u32_e32 v10, s2, v0
	s_add_i32 s2, s8, 1
	s_mul_i32 s2, s10, s2
	v_add_u32_e32 v11, s2, v0
	s_mul_i32 s2, s10, s8
	v_add_u32_e32 v12, s2, v0
	;; [unrolled: 2-line block ×3, first 2 shown]
	s_mov_b32 s4, s8
	s_branch .LBB10_18
.LBB10_17:                              ;   in Loop: Header=BB10_18 Depth=1
	s_waitcnt lgkmcnt(0)
	v_mov_b32_e32 v14, s7
	v_add_co_u32_e32 v6, vcc, s6, v6
	v_addc_co_u32_e32 v7, vcc, v14, v7, vcc
	v_lshlrev_b64 v[18:19], 4, v[4:5]
	v_mov_b32_e32 v5, s17
	v_add_co_u32_e32 v4, vcc, s16, v18
	v_addc_co_u32_e32 v5, vcc, v5, v19, vcc
	global_load_dwordx4 v[14:17], v[6:7], off
	v_mov_b32_e32 v20, s1
	global_load_dwordx4 v[4:7], v[4:5], off
	v_add_co_u32_e32 v18, vcc, s0, v18
	v_addc_co_u32_e32 v19, vcc, v20, v19, vcc
	s_add_i32 s4, s4, -1
	v_subrev_u32_e32 v8, s9, v8
	v_subrev_u32_e32 v9, s10, v9
	;; [unrolled: 1-line block ×5, first 2 shown]
	s_cmp_gt_i32 s4, 0
	v_subrev_u32_e32 v13, s10, v13
	s_waitcnt vmcnt(1)
	v_add_f64 v[2:3], v[14:15], -v[2:3]
	v_add_f64 v[0:1], v[16:17], -v[0:1]
	s_waitcnt vmcnt(0)
	v_mul_f64 v[14:15], v[6:7], v[6:7]
	v_fmac_f64_e32 v[14:15], v[4:5], v[4:5]
	v_div_scale_f64 v[20:21], s[2:3], v[14:15], v[14:15], 1.0
	v_rcp_f64_e32 v[22:23], v[20:21]
	v_mul_f64 v[16:17], v[0:1], v[6:7]
	v_mul_f64 v[6:7], v[6:7], -v[2:3]
	v_fmac_f64_e32 v[6:7], v[0:1], v[4:5]
	v_fma_f64 v[0:1], -v[20:21], v[22:23], 1.0
	v_fmac_f64_e32 v[22:23], v[22:23], v[0:1]
	v_fma_f64 v[0:1], -v[20:21], v[22:23], 1.0
	v_div_scale_f64 v[24:25], vcc, 1.0, v[14:15], 1.0
	v_fmac_f64_e32 v[22:23], v[22:23], v[0:1]
	v_mul_f64 v[0:1], v[24:25], v[22:23]
	v_fmac_f64_e32 v[16:17], v[2:3], v[4:5]
	v_fma_f64 v[2:3], -v[20:21], v[0:1], v[24:25]
	v_div_fmas_f64 v[0:1], v[2:3], v[22:23], v[0:1]
	v_div_fixup_f64 v[2:3], v[0:1], v[14:15], 1.0
	v_mul_f64 v[0:1], v[16:17], v[2:3]
	v_mul_f64 v[2:3], v[6:7], v[2:3]
	global_store_dwordx4 v[18:19], v[0:3], off
	s_cbranch_scc0 .LBB10_28
.LBB10_18:                              ; =>This Inner Loop Header: Depth=1
	s_waitcnt vmcnt(0)
	v_add_u32_e32 v4, s11, v13
	v_pk_mov_b32 v[0:1], 0, 0
	s_cmp_ge_i32 s4, s8
	v_ashrrev_i32_e32 v5, 31, v4
	v_pk_mov_b32 v[2:3], v[0:1], v[0:1] op_sel:[0,1]
	s_cbranch_scc1 .LBB10_20
; %bb.19:                               ;   in Loop: Header=BB10_18 Depth=1
	v_lshlrev_b64 v[0:1], 4, v[4:5]
	s_waitcnt lgkmcnt(0)
	v_mov_b32_e32 v2, s19
	v_add_co_u32_e32 v6, vcc, s18, v0
	v_add_u32_e32 v0, s11, v12
	v_addc_co_u32_e32 v7, vcc, v2, v1, vcc
	v_ashrrev_i32_e32 v1, 31, v0
	v_lshlrev_b64 v[0:1], 4, v[0:1]
	v_mov_b32_e32 v2, s1
	v_add_co_u32_e32 v18, vcc, s0, v0
	v_addc_co_u32_e32 v19, vcc, v2, v1, vcc
	global_load_dwordx4 v[0:3], v[6:7], off
	global_load_dwordx4 v[14:17], v[18:19], off
	s_waitcnt vmcnt(0)
	v_mul_f64 v[6:7], v[16:17], -v[2:3]
	v_mul_f64 v[16:17], v[16:17], v[0:1]
	v_fmac_f64_e32 v[6:7], v[0:1], v[14:15]
	v_fmac_f64_e32 v[16:17], v[2:3], v[14:15]
	v_add_f64 v[2:3], v[6:7], 0
	v_add_f64 v[0:1], v[16:17], 0
.LBB10_20:                              ;   in Loop: Header=BB10_18 Depth=1
	s_add_i32 s2, s4, 1
	s_cmp_ge_i32 s2, s8
	s_cbranch_scc1 .LBB10_22
; %bb.21:                               ;   in Loop: Header=BB10_18 Depth=1
	v_lshlrev_b64 v[6:7], 4, v[4:5]
	s_waitcnt lgkmcnt(0)
	v_mov_b32_e32 v14, s25
	v_add_co_u32_e32 v6, vcc, s24, v6
	v_addc_co_u32_e32 v7, vcc, v14, v7, vcc
	v_add_u32_e32 v14, s11, v11
	v_ashrrev_i32_e32 v15, 31, v14
	v_lshlrev_b64 v[14:15], 4, v[14:15]
	v_mov_b32_e32 v16, s1
	v_add_co_u32_e32 v22, vcc, s0, v14
	v_addc_co_u32_e32 v23, vcc, v16, v15, vcc
	global_load_dwordx4 v[14:17], v[6:7], off
	global_load_dwordx4 v[18:21], v[22:23], off
	s_waitcnt vmcnt(0)
	v_mul_f64 v[6:7], v[20:21], -v[16:17]
	v_mul_f64 v[20:21], v[20:21], v[14:15]
	v_fmac_f64_e32 v[6:7], v[14:15], v[18:19]
	v_fmac_f64_e32 v[20:21], v[16:17], v[18:19]
	v_add_f64 v[2:3], v[2:3], v[6:7]
	v_add_f64 v[0:1], v[0:1], v[20:21]
.LBB10_22:                              ;   in Loop: Header=BB10_18 Depth=1
	v_add_u32_e32 v6, s11, v8
	s_add_i32 s2, s4, 2
	s_cmp_lt_i32 s2, s8
	v_ashrrev_i32_e32 v7, 31, v6
	s_cbranch_scc1 .LBB10_27
; %bb.23:                               ;   in Loop: Header=BB10_18 Depth=1
	s_cbranch_execnz .LBB10_25
.LBB10_24:                              ;   in Loop: Header=BB10_18 Depth=1
	v_lshlrev_b64 v[14:15], 4, v[6:7]
	s_waitcnt lgkmcnt(0)
	v_mov_b32_e32 v16, s13
	v_add_co_u32_e32 v22, vcc, s12, v14
	v_add_u32_e32 v14, s11, v10
	v_addc_co_u32_e32 v23, vcc, v16, v15, vcc
	v_ashrrev_i32_e32 v15, 31, v14
	v_lshlrev_b64 v[14:15], 4, v[14:15]
	v_mov_b32_e32 v16, s1
	v_add_co_u32_e32 v24, vcc, s0, v14
	v_addc_co_u32_e32 v25, vcc, v16, v15, vcc
	global_load_dwordx4 v[14:17], v[22:23], off
	global_load_dwordx4 v[18:21], v[24:25], off
	s_waitcnt vmcnt(0)
	v_mul_f64 v[22:23], v[20:21], -v[16:17]
	v_mul_f64 v[20:21], v[20:21], v[14:15]
	v_fmac_f64_e32 v[22:23], v[14:15], v[18:19]
	v_fmac_f64_e32 v[20:21], v[16:17], v[18:19]
	v_add_f64 v[2:3], v[2:3], v[22:23]
	v_add_f64 v[0:1], v[0:1], v[20:21]
.LBB10_25:                              ;   in Loop: Header=BB10_18 Depth=1
	s_add_i32 s2, s4, 3
	s_cmp_ge_i32 s2, s8
	v_lshlrev_b64 v[6:7], 4, v[6:7]
	s_cbranch_scc1 .LBB10_17
; %bb.26:                               ;   in Loop: Header=BB10_18 Depth=1
	s_waitcnt lgkmcnt(0)
	v_mov_b32_e32 v14, s15
	v_add_co_u32_e32 v22, vcc, s14, v6
	v_addc_co_u32_e32 v23, vcc, v14, v7, vcc
	v_add_u32_e32 v14, s11, v9
	v_ashrrev_i32_e32 v15, 31, v14
	v_lshlrev_b64 v[14:15], 4, v[14:15]
	v_mov_b32_e32 v16, s1
	v_add_co_u32_e32 v24, vcc, s0, v14
	v_addc_co_u32_e32 v25, vcc, v16, v15, vcc
	global_load_dwordx4 v[14:17], v[22:23], off
	global_load_dwordx4 v[18:21], v[24:25], off
	s_waitcnt vmcnt(0)
	v_mul_f64 v[22:23], v[20:21], -v[16:17]
	v_mul_f64 v[20:21], v[20:21], v[14:15]
	v_fmac_f64_e32 v[22:23], v[14:15], v[18:19]
	v_fmac_f64_e32 v[20:21], v[16:17], v[18:19]
	v_add_f64 v[2:3], v[2:3], v[22:23]
	v_add_f64 v[0:1], v[0:1], v[20:21]
	s_branch .LBB10_17
.LBB10_27:                              ;   in Loop: Header=BB10_18 Depth=1
	s_branch .LBB10_24
.LBB10_28:
	s_endpgm
	.section	.rodata,"a",@progbits
	.p2align	6, 0x0
	.amdhsa_kernel _ZN9rocsparseL44gpsv_interleaved_batch_householder_qr_kernelILj256E21rocsparse_complex_numIdEEEviiiPT0_S4_S4_S4_S4_S4_S4_S4_S4_
		.amdhsa_group_segment_fixed_size 0
		.amdhsa_private_segment_fixed_size 0
		.amdhsa_kernarg_size 344
		.amdhsa_user_sgpr_count 6
		.amdhsa_user_sgpr_private_segment_buffer 1
		.amdhsa_user_sgpr_dispatch_ptr 0
		.amdhsa_user_sgpr_queue_ptr 0
		.amdhsa_user_sgpr_kernarg_segment_ptr 1
		.amdhsa_user_sgpr_dispatch_id 0
		.amdhsa_user_sgpr_flat_scratch_init 0
		.amdhsa_user_sgpr_kernarg_preload_length 0
		.amdhsa_user_sgpr_kernarg_preload_offset 0
		.amdhsa_user_sgpr_private_segment_size 0
		.amdhsa_uses_dynamic_stack 0
		.amdhsa_system_sgpr_private_segment_wavefront_offset 0
		.amdhsa_system_sgpr_workgroup_id_x 1
		.amdhsa_system_sgpr_workgroup_id_y 0
		.amdhsa_system_sgpr_workgroup_id_z 0
		.amdhsa_system_sgpr_workgroup_info 0
		.amdhsa_system_vgpr_workitem_id 0
		.amdhsa_next_free_vgpr 142
		.amdhsa_next_free_sgpr 42
		.amdhsa_accum_offset 144
		.amdhsa_reserve_vcc 1
		.amdhsa_reserve_flat_scratch 0
		.amdhsa_float_round_mode_32 0
		.amdhsa_float_round_mode_16_64 0
		.amdhsa_float_denorm_mode_32 3
		.amdhsa_float_denorm_mode_16_64 3
		.amdhsa_dx10_clamp 1
		.amdhsa_ieee_mode 1
		.amdhsa_fp16_overflow 0
		.amdhsa_tg_split 0
		.amdhsa_exception_fp_ieee_invalid_op 0
		.amdhsa_exception_fp_denorm_src 0
		.amdhsa_exception_fp_ieee_div_zero 0
		.amdhsa_exception_fp_ieee_overflow 0
		.amdhsa_exception_fp_ieee_underflow 0
		.amdhsa_exception_fp_ieee_inexact 0
		.amdhsa_exception_int_div_zero 0
	.end_amdhsa_kernel
	.section	.text._ZN9rocsparseL44gpsv_interleaved_batch_householder_qr_kernelILj256E21rocsparse_complex_numIdEEEviiiPT0_S4_S4_S4_S4_S4_S4_S4_S4_,"axG",@progbits,_ZN9rocsparseL44gpsv_interleaved_batch_householder_qr_kernelILj256E21rocsparse_complex_numIdEEEviiiPT0_S4_S4_S4_S4_S4_S4_S4_S4_,comdat
.Lfunc_end10:
	.size	_ZN9rocsparseL44gpsv_interleaved_batch_householder_qr_kernelILj256E21rocsparse_complex_numIdEEEviiiPT0_S4_S4_S4_S4_S4_S4_S4_S4_, .Lfunc_end10-_ZN9rocsparseL44gpsv_interleaved_batch_householder_qr_kernelILj256E21rocsparse_complex_numIdEEEviiiPT0_S4_S4_S4_S4_S4_S4_S4_S4_
                                        ; -- End function
	.section	.AMDGPU.csdata,"",@progbits
; Kernel info:
; codeLenInByte = 4252
; NumSgprs: 46
; NumVgprs: 142
; NumAgprs: 0
; TotalNumVgprs: 142
; ScratchSize: 0
; MemoryBound: 1
; FloatMode: 240
; IeeeMode: 1
; LDSByteSize: 0 bytes/workgroup (compile time only)
; SGPRBlocks: 5
; VGPRBlocks: 17
; NumSGPRsForWavesPerEU: 46
; NumVGPRsForWavesPerEU: 142
; AccumOffset: 144
; Occupancy: 3
; WaveLimiterHint : 0
; COMPUTE_PGM_RSRC2:SCRATCH_EN: 0
; COMPUTE_PGM_RSRC2:USER_SGPR: 6
; COMPUTE_PGM_RSRC2:TRAP_HANDLER: 0
; COMPUTE_PGM_RSRC2:TGID_X_EN: 1
; COMPUTE_PGM_RSRC2:TGID_Y_EN: 0
; COMPUTE_PGM_RSRC2:TGID_Z_EN: 0
; COMPUTE_PGM_RSRC2:TIDIG_COMP_CNT: 0
; COMPUTE_PGM_RSRC3_GFX90A:ACCUM_OFFSET: 35
; COMPUTE_PGM_RSRC3_GFX90A:TG_SPLIT: 0
	.section	.text._ZN9rocsparseL39gpsv_interleaved_batch_givens_qr_kernelILj128E21rocsparse_complex_numIdEEEviiiPT0_S4_S4_S4_S4_S4_S4_S4_,"axG",@progbits,_ZN9rocsparseL39gpsv_interleaved_batch_givens_qr_kernelILj128E21rocsparse_complex_numIdEEEviiiPT0_S4_S4_S4_S4_S4_S4_S4_,comdat
	.globl	_ZN9rocsparseL39gpsv_interleaved_batch_givens_qr_kernelILj128E21rocsparse_complex_numIdEEEviiiPT0_S4_S4_S4_S4_S4_S4_S4_ ; -- Begin function _ZN9rocsparseL39gpsv_interleaved_batch_givens_qr_kernelILj128E21rocsparse_complex_numIdEEEviiiPT0_S4_S4_S4_S4_S4_S4_S4_
	.p2align	8
	.type	_ZN9rocsparseL39gpsv_interleaved_batch_givens_qr_kernelILj128E21rocsparse_complex_numIdEEEviiiPT0_S4_S4_S4_S4_S4_S4_S4_,@function
_ZN9rocsparseL39gpsv_interleaved_batch_givens_qr_kernelILj128E21rocsparse_complex_numIdEEEviiiPT0_S4_S4_S4_S4_S4_S4_S4_: ; @_ZN9rocsparseL39gpsv_interleaved_batch_givens_qr_kernelILj128E21rocsparse_complex_numIdEEEviiiPT0_S4_S4_S4_S4_S4_S4_S4_
; %bb.0:
	s_load_dwordx4 s[16:19], s[4:5], 0x0
	s_waitcnt lgkmcnt(0)
	s_lshl_b32 s19, s6, 7
	v_or_b32_e32 v1, s19, v0
	v_cmp_gt_i32_e32 vcc, s17, v1
	s_and_saveexec_b64 s[0:1], vcc
	s_cbranch_execz .LBB11_25
; %bb.1:
	s_load_dwordx2 s[2:3], s[4:5], 0x48
	s_load_dwordx4 s[20:23], s[4:5], 0x38
	s_load_dwordx8 s[8:15], s[4:5], 0x18
	s_add_i32 s28, s16, -2
	s_cmp_lt_i32 s16, 3
	s_cbranch_scc1 .LBB11_16
; %bb.2:
	s_load_dwordx2 s[0:1], s[4:5], 0x10
	s_mov_b32 s4, 0
	s_mov_b32 s6, 0
	s_lshl_b32 s29, s18, 1
	s_waitcnt lgkmcnt(0)
	v_mov_b32_e32 v72, s9
	v_mov_b32_e32 v73, s11
	;; [unrolled: 1-line block ×5, first 2 shown]
	s_brev_b32 s5, 8
	v_mov_b32_e32 v77, 0x260
	s_brev_b32 s7, 1
	v_mov_b32_e32 v78, 0xffffff80
	v_mov_b32_e32 v58, v1
	s_mov_b32 s1, s28
	v_mov_b32_e32 v56, v1
	s_branch .LBB11_4
.LBB11_3:                               ;   in Loop: Header=BB11_4 Depth=1
	s_or_b64 exec, exec, s[24:25]
	v_cmp_gt_f64_e32 vcc, s[4:5], v[68:69]
	v_cndmask_b32_e64 v39, 0, 1, vcc
	v_lshlrev_b32_e32 v39, 8, v39
	v_ldexp_f64 v[56:57], v[68:69], v39
	v_rsq_f64_e32 v[66:67], v[56:57]
	v_cndmask_b32_e32 v39, 0, v78, vcc
	v_cmp_class_f64_e32 vcc, v[56:57], v77
	s_add_i32 s1, s1, -1
	v_mul_f64 v[68:69], v[56:57], v[66:67]
	v_mul_f64 v[66:67], v[66:67], 0.5
	v_fma_f64 v[70:71], -v[66:67], v[68:69], 0.5
	v_fmac_f64_e32 v[68:69], v[68:69], v[70:71]
	v_fmac_f64_e32 v[66:67], v[66:67], v[70:71]
	v_fma_f64 v[70:71], -v[68:69], v[68:69], v[56:57]
	v_fmac_f64_e32 v[68:69], v[70:71], v[66:67]
	v_fma_f64 v[70:71], -v[68:69], v[68:69], v[56:57]
	v_fmac_f64_e32 v[68:69], v[70:71], v[66:67]
	v_ldexp_f64 v[66:67], v[68:69], v39
	v_cndmask_b32_e32 v71, v67, v57, vcc
	v_cndmask_b32_e32 v70, v66, v56, vcc
	v_fma_f64 v[56:57], v[70:71], v[70:71], 0
	v_div_scale_f64 v[66:67], s[24:25], v[56:57], v[56:57], 1.0
	v_rcp_f64_e32 v[68:69], v[66:67]
	v_mov_b32_e32 v39, s3
	s_cmp_eq_u32 s1, 0
	v_fma_f64 v[80:81], -v[66:67], v[68:69], 1.0
	v_fmac_f64_e32 v[68:69], v[68:69], v[80:81]
	v_fma_f64 v[80:81], -v[66:67], v[68:69], 1.0
	v_fmac_f64_e32 v[68:69], v[68:69], v[80:81]
	v_div_scale_f64 v[80:81], vcc, 1.0, v[56:57], 1.0
	v_mul_f64 v[82:83], v[80:81], v[68:69]
	v_fma_f64 v[66:67], -v[66:67], v[82:83], v[80:81]
	v_mul_f64 v[80:81], v[14:15], s[6:7]
	s_nop 0
	v_div_fmas_f64 v[66:67], v[66:67], v[68:69], v[82:83]
	v_div_fixup_f64 v[88:89], v[66:67], v[56:57], 1.0
	v_mul_f64 v[66:67], v[34:35], s[6:7]
	v_fma_f64 v[66:67], -v[36:37], v[70:71], v[66:67]
	v_add_co_u32_e32 v64, vcc, s2, v64
	v_mul_f64 v[56:57], v[36:37], s[6:7]
	v_mul_f64 v[68:69], v[66:67], v[88:89]
	;; [unrolled: 1-line block ×3, first 2 shown]
	v_addc_co_u32_e32 v65, vcc, v39, v65, vcc
	v_fmac_f64_e32 v[56:57], v[34:35], v[70:71]
	v_fmac_f64_e32 v[66:67], v[14:15], v[70:71]
	v_fma_f64 v[70:71], -v[16:17], v[70:71], v[80:81]
	global_load_dwordx4 v[80:83], v[64:65], off
	global_load_dwordx4 v[84:87], v[40:41], off
	v_mul_f64 v[70:71], v[70:71], v[88:89]
	v_mul_f64 v[56:57], v[56:57], v[88:89]
	;; [unrolled: 1-line block ×3, first 2 shown]
	v_mul_f64 v[88:89], v[70:71], -v[16:17]
	v_mul_f64 v[90:91], v[14:15], v[70:71]
	v_fmac_f64_e32 v[88:89], v[14:15], v[66:67]
	v_fmac_f64_e32 v[90:91], v[16:17], v[66:67]
	v_mul_f64 v[14:15], v[12:13], v[68:69]
	v_mul_f64 v[16:17], v[10:11], -v[68:69]
	v_fmac_f64_e32 v[14:15], v[10:11], v[56:57]
	v_fmac_f64_e32 v[16:17], v[12:13], v[56:57]
	;; [unrolled: 1-line block ×4, first 2 shown]
	s_waitcnt vmcnt(4)
	v_fma_f64 v[14:15], -v[30:31], v[66:67], v[14:15]
	v_fma_f64 v[16:17], -v[32:33], v[66:67], v[16:17]
	;; [unrolled: 1-line block ×3, first 2 shown]
	v_fmac_f64_e32 v[90:91], v[34:35], v[68:69]
	v_fma_f64 v[14:15], v[32:33], -v[70:71], v[14:15]
	v_fmac_f64_e32 v[16:17], v[30:31], v[70:71]
	global_store_dwordx4 v[62:63], v[88:91], off
	global_store_dwordx4 v[54:55], v[14:17], off
	s_nop 0
	v_mul_f64 v[16:17], v[70:71], -v[12:13]
	v_mul_f64 v[14:15], v[10:11], v[70:71]
	v_fmac_f64_e32 v[16:17], v[10:11], v[66:67]
	v_fmac_f64_e32 v[14:15], v[12:13], v[66:67]
	;; [unrolled: 1-line block ×4, first 2 shown]
	v_fma_f64 v[12:13], -v[32:33], v[68:69], v[16:17]
	v_fmac_f64_e32 v[14:15], v[30:31], v[68:69]
	global_store_dwordx4 v[58:59], v[12:15], off
	v_mul_f64 v[10:11], v[8:9], v[68:69]
	v_mul_f64 v[12:13], v[6:7], -v[68:69]
	v_fmac_f64_e32 v[10:11], v[6:7], v[56:57]
	v_fmac_f64_e32 v[12:13], v[8:9], v[56:57]
	s_waitcnt vmcnt(6)
	v_fma_f64 v[10:11], -v[26:27], v[66:67], v[10:11]
	v_fma_f64 v[12:13], -v[28:29], v[66:67], v[12:13]
	v_fma_f64 v[10:11], v[28:29], -v[70:71], v[10:11]
	v_fmac_f64_e32 v[12:13], v[26:27], v[70:71]
	global_store_dwordx4 v[52:53], v[10:13], off
	v_mov_b32_e32 v58, v48
	v_mul_f64 v[12:13], v[70:71], -v[8:9]
	v_mul_f64 v[10:11], v[6:7], v[70:71]
	v_fmac_f64_e32 v[12:13], v[6:7], v[66:67]
	v_fmac_f64_e32 v[10:11], v[8:9], v[66:67]
	;; [unrolled: 1-line block ×4, first 2 shown]
	v_fma_f64 v[8:9], -v[28:29], v[68:69], v[12:13]
	v_fmac_f64_e32 v[10:11], v[26:27], v[68:69]
	global_store_dwordx4 v[60:61], v[8:11], off
	v_mul_f64 v[6:7], v[4:5], v[68:69]
	v_mul_f64 v[8:9], v[2:3], -v[68:69]
	v_fmac_f64_e32 v[6:7], v[2:3], v[56:57]
	v_fmac_f64_e32 v[8:9], v[4:5], v[56:57]
	s_waitcnt vmcnt(7)
	v_fma_f64 v[6:7], -v[22:23], v[66:67], v[6:7]
	v_fma_f64 v[8:9], -v[24:25], v[66:67], v[8:9]
	v_fma_f64 v[6:7], v[24:25], -v[70:71], v[6:7]
	v_fmac_f64_e32 v[8:9], v[22:23], v[70:71]
	global_store_dwordx4 v[50:51], v[6:9], off
	s_nop 0
	v_mul_f64 v[8:9], v[70:71], -v[4:5]
	v_mul_f64 v[6:7], v[2:3], v[70:71]
	v_fmac_f64_e32 v[8:9], v[2:3], v[66:67]
	v_fmac_f64_e32 v[6:7], v[4:5], v[66:67]
	v_fmac_f64_e32 v[8:9], v[22:23], v[56:57]
	v_fmac_f64_e32 v[6:7], v[24:25], v[56:57]
	v_fma_f64 v[4:5], -v[24:25], v[68:69], v[8:9]
	v_fmac_f64_e32 v[6:7], v[22:23], v[68:69]
	global_store_dwordx4 v[46:47], v[4:7], off
	v_mul_f64 v[2:3], v[20:21], v[68:69]
	v_mul_f64 v[4:5], v[18:19], -v[68:69]
	v_fmac_f64_e32 v[2:3], v[18:19], v[56:57]
	v_fmac_f64_e32 v[4:5], v[20:21], v[56:57]
	global_store_dwordx4 v[42:43], v[2:5], off
	v_mov_b32_e32 v7, s23
	v_mul_f64 v[2:3], v[70:71], -v[20:21]
	v_mul_f64 v[4:5], v[18:19], v[70:71]
	v_add_co_u32_e32 v6, vcc, s22, v44
	v_fmac_f64_e32 v[2:3], v[18:19], v[66:67]
	v_fmac_f64_e32 v[4:5], v[20:21], v[66:67]
	v_addc_co_u32_e32 v7, vcc, v7, v45, vcc
	global_store_dwordx4 v[6:7], v[2:5], off
	s_waitcnt vmcnt(9)
	v_mul_f64 v[2:3], v[70:71], -v[86:87]
	v_mul_f64 v[4:5], v[70:71], v[84:85]
	v_fmac_f64_e32 v[2:3], v[84:85], v[66:67]
	v_fmac_f64_e32 v[4:5], v[86:87], v[66:67]
	;; [unrolled: 1-line block ×4, first 2 shown]
	v_fma_f64 v[2:3], -v[82:83], v[68:69], v[2:3]
	v_fmac_f64_e32 v[4:5], v[80:81], v[68:69]
	global_store_dwordx4 v[64:65], v[2:5], off
	s_nop 0
	v_mul_f64 v[2:3], v[68:69], v[86:87]
	v_mul_f64 v[4:5], v[84:85], -v[68:69]
	v_fmac_f64_e32 v[2:3], v[84:85], v[56:57]
	v_fmac_f64_e32 v[4:5], v[86:87], v[56:57]
	v_fma_f64 v[2:3], -v[80:81], v[66:67], v[2:3]
	v_fma_f64 v[4:5], -v[82:83], v[66:67], v[4:5]
	v_fma_f64 v[2:3], v[82:83], -v[70:71], v[2:3]
	v_fmac_f64_e32 v[4:5], v[80:81], v[70:71]
	v_mov_b32_e32 v56, v38
	global_store_dwordx4 v[40:41], v[2:5], off
	s_cbranch_scc1 .LBB11_16
.LBB11_4:                               ; =>This Inner Loop Header: Depth=1
	v_add_u32_e32 v2, s29, v58
	v_ashrrev_i32_e32 v3, 31, v2
	v_add_u32_e32 v48, s18, v58
	v_lshlrev_b64 v[60:61], 4, v[2:3]
	v_add_co_u32_e32 v2, vcc, s0, v60
	v_ashrrev_i32_e32 v49, 31, v48
	v_addc_co_u32_e32 v3, vcc, v75, v61, vcc
	v_lshlrev_b64 v[62:63], 4, v[48:49]
	v_add_co_u32_e32 v70, vcc, s8, v62
	v_addc_co_u32_e32 v71, vcc, v72, v63, vcc
	v_add_co_u32_e32 v68, vcc, s8, v60
	v_addc_co_u32_e32 v69, vcc, v72, v61, vcc
	;; [unrolled: 2-line block ×4, first 2 shown]
	global_load_dwordx4 v[2:5], v[2:3], off
	v_add_co_u32_e32 v52, vcc, s12, v62
	v_addc_co_u32_e32 v53, vcc, v74, v63, vcc
	v_add_co_u32_e32 v64, vcc, s12, v60
	global_load_dwordx4 v[6:9], v[70:71], off
	global_load_dwordx4 v[40:43], v[68:69], off
	v_addc_co_u32_e32 v65, vcc, v74, v61, vcc
	v_add_co_u32_e32 v50, vcc, s14, v62
	v_addc_co_u32_e32 v51, vcc, v76, v63, vcc
	v_add_co_u32_e32 v18, vcc, s14, v60
	global_load_dwordx4 v[44:47], v[54:55], off
	global_load_dwordx4 v[32:35], v[66:67], off
	;; [unrolled: 1-line block ×4, first 2 shown]
	v_addc_co_u32_e32 v19, vcc, v76, v61, vcc
	global_load_dwordx4 v[28:31], v[50:51], off
	global_load_dwordx4 v[20:23], v[18:19], off
	s_waitcnt vmcnt(8)
	v_mul_f64 v[12:13], v[2:3], -v[4:5]
	v_fmac_f64_e32 v[12:13], v[4:5], v[2:3]
	v_mul_f64 v[10:11], v[4:5], v[4:5]
	v_fmac_f64_e32 v[10:11], v[2:3], v[2:3]
	s_waitcnt vmcnt(7)
	v_fmac_f64_e32 v[12:13], v[8:9], v[6:7]
	v_fma_f64 v[16:17], v[6:7], -v[8:9], v[12:13]
	v_fmac_f64_e32 v[10:11], v[6:7], v[6:7]
	v_xor_b32_e32 v12, 0x80000000, v17
	v_cmp_gt_f64_e32 vcc, 0, v[16:17]
	v_fmac_f64_e32 v[10:11], v[8:9], v[8:9]
	v_cndmask_b32_e32 v15, v17, v12, vcc
	v_cndmask_b32_e32 v14, v16, v16, vcc
	v_cmp_ngt_f64_e32 vcc, v[10:11], v[14:15]
                                        ; implicit-def: $vgpr12_vgpr13
	s_and_saveexec_b64 s[24:25], vcc
	s_xor_b64 s[24:25], exec, s[24:25]
	s_cbranch_execz .LBB11_8
; %bb.5:                                ;   in Loop: Header=BB11_4 Depth=1
	v_cmp_neq_f64_e32 vcc, 0, v[16:17]
	v_pk_mov_b32 v[12:13], 0, 0
	s_and_saveexec_b64 s[26:27], vcc
	s_cbranch_execz .LBB11_7
; %bb.6:                                ;   in Loop: Header=BB11_4 Depth=1
	v_div_scale_f64 v[12:13], s[30:31], v[14:15], v[14:15], v[10:11]
	v_rcp_f64_e32 v[16:17], v[12:13]
	v_div_scale_f64 v[80:81], vcc, v[10:11], v[14:15], v[10:11]
	v_fma_f64 v[82:83], -v[12:13], v[16:17], 1.0
	v_fmac_f64_e32 v[16:17], v[16:17], v[82:83]
	v_fma_f64 v[82:83], -v[12:13], v[16:17], 1.0
	v_fmac_f64_e32 v[16:17], v[16:17], v[82:83]
	v_mul_f64 v[82:83], v[80:81], v[16:17]
	v_fma_f64 v[12:13], -v[12:13], v[82:83], v[80:81]
	v_div_fmas_f64 v[12:13], v[12:13], v[16:17], v[82:83]
	v_div_fixup_f64 v[10:11], v[12:13], v[14:15], v[10:11]
	v_fma_f64 v[10:11], v[10:11], v[10:11], 1.0
	v_cmp_gt_f64_e32 vcc, s[4:5], v[10:11]
	v_cndmask_b32_e64 v12, 0, 1, vcc
	v_lshlrev_b32_e32 v12, 8, v12
	v_ldexp_f64 v[10:11], v[10:11], v12
	v_rsq_f64_e32 v[12:13], v[10:11]
	v_mul_f64 v[16:17], v[10:11], v[12:13]
	v_mul_f64 v[12:13], v[12:13], 0.5
	v_fma_f64 v[80:81], -v[12:13], v[16:17], 0.5
	v_fmac_f64_e32 v[16:17], v[16:17], v[80:81]
	v_fma_f64 v[82:83], -v[16:17], v[16:17], v[10:11]
	v_fmac_f64_e32 v[12:13], v[12:13], v[80:81]
	v_fmac_f64_e32 v[16:17], v[82:83], v[12:13]
	v_fma_f64 v[80:81], -v[16:17], v[16:17], v[10:11]
	v_fmac_f64_e32 v[16:17], v[80:81], v[12:13]
	v_cndmask_b32_e32 v12, 0, v78, vcc
	v_ldexp_f64 v[12:13], v[16:17], v12
	v_cmp_class_f64_e32 vcc, v[10:11], v77
	v_cndmask_b32_e32 v11, v13, v11, vcc
	v_cndmask_b32_e32 v10, v12, v10, vcc
	v_mul_f64 v[12:13], v[14:15], v[10:11]
.LBB11_7:                               ;   in Loop: Header=BB11_4 Depth=1
	s_or_b64 exec, exec, s[26:27]
                                        ; implicit-def: $vgpr10_vgpr11
                                        ; implicit-def: $vgpr14_vgpr15
.LBB11_8:                               ;   in Loop: Header=BB11_4 Depth=1
	s_andn2_saveexec_b64 s[24:25], s[24:25]
	s_cbranch_execz .LBB11_10
; %bb.9:                                ;   in Loop: Header=BB11_4 Depth=1
	v_div_scale_f64 v[12:13], s[26:27], v[10:11], v[10:11], v[14:15]
	v_rcp_f64_e32 v[16:17], v[12:13]
	v_div_scale_f64 v[80:81], vcc, v[14:15], v[10:11], v[14:15]
	v_fma_f64 v[82:83], -v[12:13], v[16:17], 1.0
	v_fmac_f64_e32 v[16:17], v[16:17], v[82:83]
	v_fma_f64 v[82:83], -v[12:13], v[16:17], 1.0
	v_fmac_f64_e32 v[16:17], v[16:17], v[82:83]
	v_mul_f64 v[82:83], v[80:81], v[16:17]
	v_fma_f64 v[12:13], -v[12:13], v[82:83], v[80:81]
	v_div_fmas_f64 v[12:13], v[12:13], v[16:17], v[82:83]
	v_div_fixup_f64 v[12:13], v[12:13], v[10:11], v[14:15]
	v_fma_f64 v[12:13], v[12:13], v[12:13], 1.0
	v_cmp_gt_f64_e32 vcc, s[4:5], v[12:13]
	v_cndmask_b32_e64 v14, 0, 1, vcc
	v_lshlrev_b32_e32 v14, 8, v14
	v_ldexp_f64 v[12:13], v[12:13], v14
	v_rsq_f64_e32 v[14:15], v[12:13]
	v_mul_f64 v[16:17], v[12:13], v[14:15]
	v_mul_f64 v[14:15], v[14:15], 0.5
	v_fma_f64 v[80:81], -v[14:15], v[16:17], 0.5
	v_fmac_f64_e32 v[16:17], v[16:17], v[80:81]
	v_fmac_f64_e32 v[14:15], v[14:15], v[80:81]
	v_fma_f64 v[80:81], -v[16:17], v[16:17], v[12:13]
	v_fmac_f64_e32 v[16:17], v[80:81], v[14:15]
	v_fma_f64 v[80:81], -v[16:17], v[16:17], v[12:13]
	v_fmac_f64_e32 v[16:17], v[80:81], v[14:15]
	v_cndmask_b32_e32 v14, 0, v78, vcc
	v_ldexp_f64 v[14:15], v[16:17], v14
	v_cmp_class_f64_e32 vcc, v[12:13], v77
	v_cndmask_b32_e32 v13, v15, v13, vcc
	v_cndmask_b32_e32 v12, v14, v12, vcc
	v_mul_f64 v[12:13], v[10:11], v[12:13]
.LBB11_10:                              ;   in Loop: Header=BB11_4 Depth=1
	s_or_b64 exec, exec, s[24:25]
	v_cmp_gt_f64_e32 vcc, s[4:5], v[12:13]
	v_cndmask_b32_e64 v10, 0, 1, vcc
	v_lshlrev_b32_e32 v10, 8, v10
	v_ldexp_f64 v[10:11], v[12:13], v10
	v_rsq_f64_e32 v[12:13], v[10:11]
	v_ashrrev_i32_e32 v59, 31, v58
	v_ashrrev_i32_e32 v57, 31, v56
	v_mul_f64 v[14:15], v[10:11], v[12:13]
	v_mul_f64 v[12:13], v[12:13], 0.5
	v_fma_f64 v[16:17], -v[12:13], v[14:15], 0.5
	v_fmac_f64_e32 v[14:15], v[14:15], v[16:17]
	v_fma_f64 v[80:81], -v[14:15], v[14:15], v[10:11]
	v_fmac_f64_e32 v[12:13], v[12:13], v[16:17]
	v_fmac_f64_e32 v[14:15], v[80:81], v[12:13]
	v_fma_f64 v[16:17], -v[14:15], v[14:15], v[10:11]
	v_fmac_f64_e32 v[14:15], v[16:17], v[12:13]
	v_cndmask_b32_e32 v12, 0, v78, vcc
	v_ldexp_f64 v[12:13], v[14:15], v12
	v_cmp_class_f64_e32 vcc, v[10:11], v77
	v_cndmask_b32_e32 v11, v13, v11, vcc
	v_cndmask_b32_e32 v10, v12, v10, vcc
	v_fma_f64 v[12:13], v[10:11], v[10:11], 0
	v_div_scale_f64 v[14:15], s[24:25], v[12:13], v[12:13], 1.0
	v_rcp_f64_e32 v[16:17], v[14:15]
	v_fma_f64 v[80:81], -v[14:15], v[16:17], 1.0
	v_fmac_f64_e32 v[16:17], v[16:17], v[80:81]
	v_fma_f64 v[80:81], -v[14:15], v[16:17], 1.0
	v_fmac_f64_e32 v[16:17], v[16:17], v[80:81]
	v_div_scale_f64 v[80:81], vcc, 1.0, v[12:13], 1.0
	v_mul_f64 v[82:83], v[80:81], v[16:17]
	v_fma_f64 v[14:15], -v[14:15], v[82:83], v[80:81]
	s_nop 1
	v_div_fmas_f64 v[14:15], v[14:15], v[16:17], v[82:83]
	v_div_fixup_f64 v[12:13], v[14:15], v[12:13], 1.0
	v_mul_f64 v[14:15], v[8:9], s[6:7]
	v_fmac_f64_e32 v[14:15], v[6:7], v[10:11]
	v_mul_f64 v[80:81], v[14:15], v[12:13]
	v_mul_f64 v[14:15], v[6:7], s[6:7]
	v_fma_f64 v[14:15], -v[8:9], v[10:11], v[14:15]
	v_mul_f64 v[82:83], v[14:15], v[12:13]
	v_mul_f64 v[14:15], v[4:5], s[6:7]
	v_fmac_f64_e32 v[14:15], v[2:3], v[10:11]
	v_mul_f64 v[84:85], v[14:15], v[12:13]
	v_mul_f64 v[14:15], v[2:3], s[6:7]
	v_fma_f64 v[10:11], -v[4:5], v[10:11], v[14:15]
	v_mul_f64 v[86:87], v[10:11], v[12:13]
	v_mul_f64 v[10:11], v[86:87], -v[4:5]
	v_mul_f64 v[16:17], v[2:3], v[86:87]
	v_fmac_f64_e32 v[10:11], v[2:3], v[84:85]
	v_fmac_f64_e32 v[16:17], v[4:5], v[84:85]
	;; [unrolled: 1-line block ×4, first 2 shown]
	v_fma_f64 v[14:15], -v[8:9], v[82:83], v[10:11]
	v_fmac_f64_e32 v[16:17], v[6:7], v[82:83]
	global_store_dwordx4 v[70:71], v[14:17], off
	s_waitcnt vmcnt(7)
	v_mul_f64 v[70:71], v[42:43], v[82:83]
	v_mul_f64 v[88:89], v[40:41], -v[82:83]
	v_mul_f64 v[2:3], v[86:87], -v[42:43]
	v_mul_f64 v[12:13], v[40:41], v[86:87]
	v_fmac_f64_e32 v[70:71], v[40:41], v[80:81]
	v_fmac_f64_e32 v[88:89], v[42:43], v[80:81]
	v_fmac_f64_e32 v[2:3], v[40:41], v[84:85]
	v_fmac_f64_e32 v[12:13], v[42:43], v[84:85]
	s_waitcnt vmcnt(6)
	v_fma_f64 v[40:41], -v[44:45], v[84:85], v[70:71]
	v_fma_f64 v[42:43], -v[46:47], v[84:85], v[88:89]
	v_fmac_f64_e32 v[2:3], v[44:45], v[80:81]
	v_fmac_f64_e32 v[12:13], v[46:47], v[80:81]
	v_fma_f64 v[40:41], v[46:47], -v[86:87], v[40:41]
	v_fmac_f64_e32 v[42:43], v[44:45], v[86:87]
	v_fma_f64 v[10:11], -v[46:47], v[82:83], v[2:3]
	v_fmac_f64_e32 v[12:13], v[44:45], v[82:83]
	global_store_dwordx4 v[68:69], v[40:43], off
	global_store_dwordx4 v[54:55], v[10:13], off
	s_waitcnt vmcnt(7)
	v_mul_f64 v[40:41], v[34:35], v[82:83]
	v_mul_f64 v[42:43], v[32:33], -v[82:83]
	v_mul_f64 v[2:3], v[86:87], -v[34:35]
	v_mul_f64 v[8:9], v[32:33], v[86:87]
	v_fmac_f64_e32 v[40:41], v[32:33], v[80:81]
	v_fmac_f64_e32 v[42:43], v[34:35], v[80:81]
	v_fmac_f64_e32 v[2:3], v[32:33], v[84:85]
	v_fmac_f64_e32 v[8:9], v[34:35], v[84:85]
	s_waitcnt vmcnt(6)
	v_fma_f64 v[32:33], -v[36:37], v[84:85], v[40:41]
	v_fma_f64 v[34:35], -v[38:39], v[84:85], v[42:43]
	v_fmac_f64_e32 v[2:3], v[36:37], v[80:81]
	v_fmac_f64_e32 v[8:9], v[38:39], v[80:81]
	v_fma_f64 v[32:33], v[38:39], -v[86:87], v[32:33]
	v_fmac_f64_e32 v[34:35], v[36:37], v[86:87]
	v_fma_f64 v[6:7], -v[38:39], v[82:83], v[2:3]
	v_fmac_f64_e32 v[8:9], v[36:37], v[82:83]
	global_store_dwordx4 v[66:67], v[32:35], off
	;; [unrolled: 20-line block ×3, first 2 shown]
	global_store_dwordx4 v[50:51], v[2:5], off
	s_waitcnt vmcnt(7)
	v_mul_f64 v[24:25], v[22:23], v[82:83]
	v_mul_f64 v[26:27], v[20:21], -v[82:83]
	v_fmac_f64_e32 v[24:25], v[20:21], v[80:81]
	v_fmac_f64_e32 v[26:27], v[22:23], v[80:81]
	global_store_dwordx4 v[18:19], v[24:27], off
	v_mul_f64 v[18:19], v[86:87], -v[22:23]
	v_add_u32_e32 v38, s17, v56
	v_fmac_f64_e32 v[18:19], v[20:21], v[84:85]
	v_mul_f64 v[20:21], v[20:21], v[86:87]
	v_ashrrev_i32_e32 v39, 31, v38
	v_fmac_f64_e32 v[20:21], v[22:23], v[84:85]
	v_lshlrev_b64 v[22:23], 4, v[38:39]
	v_add_co_u32_e32 v42, vcc, s20, v22
	v_mov_b32_e32 v39, s21
	v_addc_co_u32_e32 v43, vcc, v39, v23, vcc
	v_add_co_u32_e32 v40, vcc, s2, v62
	v_mov_b32_e32 v26, s3
	v_addc_co_u32_e32 v41, vcc, v26, v63, vcc
	v_add_co_u32_e32 v34, vcc, s2, v60
	v_addc_co_u32_e32 v35, vcc, v26, v61, vcc
	global_load_dwordx4 v[22:25], v[40:41], off
	global_load_dwordx4 v[26:29], v[34:35], off
	v_lshlrev_b64 v[64:65], 4, v[58:59]
	v_add_co_u32_e32 v62, vcc, s10, v64
	v_lshlrev_b64 v[44:45], 4, v[56:57]
	global_store_dwordx4 v[42:43], v[18:21], off
	v_mul_f64 v[66:67], v[14:15], -v[16:17]
	v_fmac_f64_e32 v[66:67], v[16:17], v[14:15]
	v_mul_f64 v[56:57], v[16:17], v[16:17]
	v_fmac_f64_e32 v[56:57], v[14:15], v[14:15]
                                        ; implicit-def: $vgpr68_vgpr69
	s_waitcnt vmcnt(1)
	v_mul_f64 v[30:31], v[86:87], -v[28:29]
	v_mul_f64 v[32:33], v[86:87], v[26:27]
	v_fmac_f64_e32 v[30:31], v[26:27], v[84:85]
	v_fmac_f64_e32 v[32:33], v[28:29], v[84:85]
	v_fmac_f64_e32 v[30:31], v[22:23], v[80:81]
	v_fmac_f64_e32 v[32:33], v[24:25], v[80:81]
	v_fma_f64 v[30:31], -v[24:25], v[82:83], v[30:31]
	v_fmac_f64_e32 v[32:33], v[22:23], v[82:83]
	global_store_dwordx4 v[40:41], v[30:33], off
	s_nop 0
	v_mul_f64 v[32:33], v[26:27], -v[82:83]
	v_mul_f64 v[30:31], v[82:83], v[28:29]
	v_fmac_f64_e32 v[32:33], v[28:29], v[80:81]
	v_fmac_f64_e32 v[30:31], v[26:27], v[80:81]
	v_fma_f64 v[28:29], -v[24:25], v[84:85], v[32:33]
	v_fma_f64 v[26:27], -v[22:23], v[84:85], v[30:31]
	v_fmac_f64_e32 v[28:29], v[22:23], v[86:87]
	v_mov_b32_e32 v22, s11
	v_addc_co_u32_e32 v63, vcc, v22, v65, vcc
	v_fma_f64 v[26:27], v[24:25], -v[86:87], v[26:27]
	v_add_co_u32_e32 v58, vcc, s12, v64
	v_mov_b32_e32 v22, s13
	global_store_dwordx4 v[34:35], v[26:29], off
	global_load_dwordx4 v[34:37], v[62:63], off
	v_addc_co_u32_e32 v59, vcc, v22, v65, vcc
	v_add_co_u32_e32 v60, vcc, s14, v64
	v_mov_b32_e32 v22, s15
	v_addc_co_u32_e32 v61, vcc, v22, v65, vcc
	v_add_co_u32_e32 v46, vcc, s20, v44
	v_addc_co_u32_e32 v47, vcc, v39, v45, vcc
	global_load_dwordx4 v[30:33], v[58:59], off
	global_load_dwordx4 v[26:29], v[60:61], off
	;; [unrolled: 1-line block ×3, first 2 shown]
	s_waitcnt vmcnt(3)
	v_fmac_f64_e32 v[66:67], v[36:37], v[34:35]
	v_fma_f64 v[70:71], v[34:35], -v[36:37], v[66:67]
	v_fmac_f64_e32 v[56:57], v[34:35], v[34:35]
	v_cmp_gt_f64_e32 vcc, 0, v[70:71]
	v_xor_b32_e32 v39, 0x80000000, v71
	v_fmac_f64_e32 v[56:57], v[36:37], v[36:37]
	v_cndmask_b32_e32 v67, v71, v39, vcc
	v_cndmask_b32_e32 v66, v70, v70, vcc
	v_cmp_ngt_f64_e32 vcc, v[56:57], v[66:67]
	s_and_saveexec_b64 s[24:25], vcc
	s_xor_b64 s[24:25], exec, s[24:25]
	s_cbranch_execz .LBB11_14
; %bb.11:                               ;   in Loop: Header=BB11_4 Depth=1
	v_cmp_neq_f64_e32 vcc, 0, v[70:71]
	v_pk_mov_b32 v[68:69], 0, 0
	s_and_saveexec_b64 s[26:27], vcc
	s_cbranch_execz .LBB11_13
; %bb.12:                               ;   in Loop: Header=BB11_4 Depth=1
	v_div_scale_f64 v[68:69], s[30:31], v[66:67], v[66:67], v[56:57]
	v_rcp_f64_e32 v[70:71], v[68:69]
	v_div_scale_f64 v[80:81], vcc, v[56:57], v[66:67], v[56:57]
	v_fma_f64 v[82:83], -v[68:69], v[70:71], 1.0
	v_fmac_f64_e32 v[70:71], v[70:71], v[82:83]
	v_fma_f64 v[82:83], -v[68:69], v[70:71], 1.0
	v_fmac_f64_e32 v[70:71], v[70:71], v[82:83]
	v_mul_f64 v[82:83], v[80:81], v[70:71]
	v_fma_f64 v[68:69], -v[68:69], v[82:83], v[80:81]
	v_div_fmas_f64 v[68:69], v[68:69], v[70:71], v[82:83]
	v_div_fixup_f64 v[56:57], v[68:69], v[66:67], v[56:57]
	v_fma_f64 v[56:57], v[56:57], v[56:57], 1.0
	v_cmp_gt_f64_e32 vcc, s[4:5], v[56:57]
	v_cndmask_b32_e64 v39, 0, 1, vcc
	v_lshlrev_b32_e32 v39, 8, v39
	v_ldexp_f64 v[56:57], v[56:57], v39
	v_rsq_f64_e32 v[68:69], v[56:57]
	v_cndmask_b32_e32 v39, 0, v78, vcc
	v_cmp_class_f64_e32 vcc, v[56:57], v77
	v_mul_f64 v[70:71], v[56:57], v[68:69]
	v_mul_f64 v[68:69], v[68:69], 0.5
	v_fma_f64 v[80:81], -v[68:69], v[70:71], 0.5
	v_fmac_f64_e32 v[70:71], v[70:71], v[80:81]
	v_fma_f64 v[82:83], -v[70:71], v[70:71], v[56:57]
	v_fmac_f64_e32 v[68:69], v[68:69], v[80:81]
	v_fmac_f64_e32 v[70:71], v[82:83], v[68:69]
	v_fma_f64 v[80:81], -v[70:71], v[70:71], v[56:57]
	v_fmac_f64_e32 v[70:71], v[80:81], v[68:69]
	v_ldexp_f64 v[68:69], v[70:71], v39
	v_cndmask_b32_e32 v57, v69, v57, vcc
	v_cndmask_b32_e32 v56, v68, v56, vcc
	v_mul_f64 v[68:69], v[66:67], v[56:57]
.LBB11_13:                              ;   in Loop: Header=BB11_4 Depth=1
	s_or_b64 exec, exec, s[26:27]
                                        ; implicit-def: $vgpr56_vgpr57
                                        ; implicit-def: $vgpr66_vgpr67
.LBB11_14:                              ;   in Loop: Header=BB11_4 Depth=1
	s_andn2_saveexec_b64 s[24:25], s[24:25]
	s_cbranch_execz .LBB11_3
; %bb.15:                               ;   in Loop: Header=BB11_4 Depth=1
	v_div_scale_f64 v[68:69], s[26:27], v[56:57], v[56:57], v[66:67]
	v_rcp_f64_e32 v[70:71], v[68:69]
	v_div_scale_f64 v[80:81], vcc, v[66:67], v[56:57], v[66:67]
	v_fma_f64 v[82:83], -v[68:69], v[70:71], 1.0
	v_fmac_f64_e32 v[70:71], v[70:71], v[82:83]
	v_fma_f64 v[82:83], -v[68:69], v[70:71], 1.0
	v_fmac_f64_e32 v[70:71], v[70:71], v[82:83]
	v_mul_f64 v[82:83], v[80:81], v[70:71]
	v_fma_f64 v[68:69], -v[68:69], v[82:83], v[80:81]
	v_div_fmas_f64 v[68:69], v[68:69], v[70:71], v[82:83]
	v_div_fixup_f64 v[66:67], v[68:69], v[56:57], v[66:67]
	v_fma_f64 v[66:67], v[66:67], v[66:67], 1.0
	v_cmp_gt_f64_e32 vcc, s[4:5], v[66:67]
	v_cndmask_b32_e64 v39, 0, 1, vcc
	v_lshlrev_b32_e32 v39, 8, v39
	v_ldexp_f64 v[66:67], v[66:67], v39
	v_rsq_f64_e32 v[68:69], v[66:67]
	v_cndmask_b32_e32 v39, 0, v78, vcc
	v_cmp_class_f64_e32 vcc, v[66:67], v77
	v_mul_f64 v[70:71], v[66:67], v[68:69]
	v_mul_f64 v[68:69], v[68:69], 0.5
	v_fma_f64 v[80:81], -v[68:69], v[70:71], 0.5
	v_fmac_f64_e32 v[70:71], v[70:71], v[80:81]
	v_fma_f64 v[82:83], -v[70:71], v[70:71], v[66:67]
	v_fmac_f64_e32 v[68:69], v[68:69], v[80:81]
	v_fmac_f64_e32 v[70:71], v[82:83], v[68:69]
	v_fma_f64 v[80:81], -v[70:71], v[70:71], v[66:67]
	v_fmac_f64_e32 v[70:71], v[80:81], v[68:69]
	v_ldexp_f64 v[68:69], v[70:71], v39
	v_cndmask_b32_e32 v67, v69, v67, vcc
	v_cndmask_b32_e32 v66, v68, v66, vcc
	v_mul_f64 v[68:69], v[56:57], v[66:67]
	s_branch .LBB11_3
.LBB11_16:
	s_add_i32 s6, s16, -1
	s_mul_i32 s6, s6, s18
	v_add_u32_e32 v2, s6, v1
	v_ashrrev_i32_e32 v3, 31, v2
	v_lshlrev_b64 v[58:59], 4, v[2:3]
	s_waitcnt lgkmcnt(0)
	v_mov_b32_e32 v3, s9
	v_add_co_u32_e32 v2, vcc, s8, v58
	v_addc_co_u32_e32 v3, vcc, v3, v59, vcc
	s_sub_i32 s7, s6, s18
	global_load_dwordx4 v[22:25], v[2:3], off
	v_add_u32_e32 v2, s7, v1
	v_ashrrev_i32_e32 v3, 31, v2
	v_lshlrev_b64 v[60:61], 4, v[2:3]
	v_mov_b32_e32 v2, s11
	v_add_co_u32_e32 v46, vcc, s10, v60
	v_addc_co_u32_e32 v47, vcc, v2, v61, vcc
	v_add_co_u32_e32 v56, vcc, s10, v58
	v_addc_co_u32_e32 v57, vcc, v2, v59, vcc
	v_mov_b32_e32 v2, s13
	v_add_co_u32_e32 v52, vcc, s12, v60
	v_addc_co_u32_e32 v53, vcc, v2, v61, vcc
	v_add_co_u32_e32 v54, vcc, s12, v58
	v_addc_co_u32_e32 v55, vcc, v2, v59, vcc
	v_mov_b32_e32 v2, s15
	v_add_co_u32_e32 v48, vcc, s14, v60
	v_addc_co_u32_e32 v49, vcc, v2, v61, vcc
	v_add_co_u32_e32 v50, vcc, s14, v58
	s_mul_i32 s0, s28, s17
	v_addc_co_u32_e32 v51, vcc, v2, v59, vcc
	v_add_u32_e32 v2, s0, v1
	v_ashrrev_i32_e32 v3, 31, v2
	v_lshlrev_b64 v[38:39], 4, v[2:3]
	v_add_u32_e32 v40, s17, v2
	v_mov_b32_e32 v4, s21
	v_add_co_u32_e32 v44, vcc, s20, v38
	v_ashrrev_i32_e32 v41, 31, v40
	global_load_dwordx4 v[34:37], v[46:47], off
	global_load_dwordx4 v[26:29], v[56:57], off
	v_addc_co_u32_e32 v45, vcc, v4, v39, vcc
	v_lshlrev_b64 v[2:3], 4, v[40:41]
	v_add_co_u32_e32 v42, vcc, s20, v2
	global_load_dwordx4 v[30:33], v[52:53], off
	global_load_dwordx4 v[14:17], v[54:55], off
	v_addc_co_u32_e32 v43, vcc, v4, v3, vcc
	global_load_dwordx4 v[6:9], v[44:45], off
	global_load_dwordx4 v[2:5], v[42:43], off
	;; [unrolled: 1-line block ×4, first 2 shown]
                                        ; implicit-def: $vgpr66_vgpr67
	s_waitcnt vmcnt(8)
	v_mul_f64 v[64:65], v[22:23], -v[24:25]
	v_fmac_f64_e32 v[64:65], v[24:25], v[22:23]
	v_mul_f64 v[62:63], v[24:25], v[24:25]
	v_fmac_f64_e32 v[62:63], v[22:23], v[22:23]
	s_waitcnt vmcnt(7)
	v_fmac_f64_e32 v[64:65], v[36:37], v[34:35]
	v_fma_f64 v[68:69], v[34:35], -v[36:37], v[64:65]
	v_fmac_f64_e32 v[62:63], v[34:35], v[34:35]
	v_xor_b32_e32 v41, 0x80000000, v69
	v_cmp_gt_f64_e32 vcc, 0, v[68:69]
	v_fmac_f64_e32 v[62:63], v[36:37], v[36:37]
	v_cndmask_b32_e32 v65, v69, v41, vcc
	v_cndmask_b32_e32 v64, v68, v68, vcc
	v_cmp_ngt_f64_e32 vcc, v[62:63], v[64:65]
	s_and_saveexec_b64 s[0:1], vcc
	s_xor_b64 s[0:1], exec, s[0:1]
	s_cbranch_execz .LBB11_20
; %bb.17:
	v_cmp_neq_f64_e32 vcc, 0, v[68:69]
	v_pk_mov_b32 v[66:67], 0, 0
	s_and_saveexec_b64 s[4:5], vcc
	s_cbranch_execz .LBB11_19
; %bb.18:
	v_div_scale_f64 v[66:67], s[8:9], v[64:65], v[64:65], v[62:63]
	v_rcp_f64_e32 v[68:69], v[66:67]
	v_div_scale_f64 v[70:71], vcc, v[62:63], v[64:65], v[62:63]
	s_mov_b32 s8, 0
	v_fma_f64 v[72:73], -v[66:67], v[68:69], 1.0
	v_fmac_f64_e32 v[68:69], v[68:69], v[72:73]
	v_fma_f64 v[72:73], -v[66:67], v[68:69], 1.0
	v_fmac_f64_e32 v[68:69], v[68:69], v[72:73]
	v_mul_f64 v[72:73], v[70:71], v[68:69]
	v_fma_f64 v[66:67], -v[66:67], v[72:73], v[70:71]
	v_div_fmas_f64 v[66:67], v[66:67], v[68:69], v[72:73]
	v_div_fixup_f64 v[62:63], v[66:67], v[64:65], v[62:63]
	v_fma_f64 v[62:63], v[62:63], v[62:63], 1.0
	s_brev_b32 s9, 8
	v_cmp_gt_f64_e32 vcc, s[8:9], v[62:63]
	v_cndmask_b32_e64 v41, 0, 1, vcc
	v_lshlrev_b32_e32 v41, 8, v41
	v_ldexp_f64 v[62:63], v[62:63], v41
	v_rsq_f64_e32 v[66:67], v[62:63]
	v_mov_b32_e32 v41, 0xffffff80
	v_cndmask_b32_e32 v41, 0, v41, vcc
	v_mul_f64 v[68:69], v[62:63], v[66:67]
	v_mul_f64 v[66:67], v[66:67], 0.5
	v_fma_f64 v[70:71], -v[66:67], v[68:69], 0.5
	v_fmac_f64_e32 v[68:69], v[68:69], v[70:71]
	v_fma_f64 v[72:73], -v[68:69], v[68:69], v[62:63]
	v_fmac_f64_e32 v[66:67], v[66:67], v[70:71]
	v_fmac_f64_e32 v[68:69], v[72:73], v[66:67]
	v_fma_f64 v[70:71], -v[68:69], v[68:69], v[62:63]
	v_fmac_f64_e32 v[68:69], v[70:71], v[66:67]
	v_ldexp_f64 v[66:67], v[68:69], v41
	v_mov_b32_e32 v41, 0x260
	v_cmp_class_f64_e32 vcc, v[62:63], v41
	v_cndmask_b32_e32 v63, v67, v63, vcc
	v_cndmask_b32_e32 v62, v66, v62, vcc
	v_mul_f64 v[66:67], v[64:65], v[62:63]
.LBB11_19:
	s_or_b64 exec, exec, s[4:5]
                                        ; implicit-def: $vgpr62_vgpr63
                                        ; implicit-def: $vgpr64_vgpr65
.LBB11_20:
	s_andn2_saveexec_b64 s[0:1], s[0:1]
	s_cbranch_execz .LBB11_22
; %bb.21:
	v_div_scale_f64 v[66:67], s[4:5], v[62:63], v[62:63], v[64:65]
	v_rcp_f64_e32 v[68:69], v[66:67]
	v_div_scale_f64 v[70:71], vcc, v[64:65], v[62:63], v[64:65]
	s_mov_b32 s4, 0
	v_fma_f64 v[72:73], -v[66:67], v[68:69], 1.0
	v_fmac_f64_e32 v[68:69], v[68:69], v[72:73]
	v_fma_f64 v[72:73], -v[66:67], v[68:69], 1.0
	v_fmac_f64_e32 v[68:69], v[68:69], v[72:73]
	v_mul_f64 v[72:73], v[70:71], v[68:69]
	v_fma_f64 v[66:67], -v[66:67], v[72:73], v[70:71]
	v_div_fmas_f64 v[66:67], v[66:67], v[68:69], v[72:73]
	v_div_fixup_f64 v[64:65], v[66:67], v[62:63], v[64:65]
	v_fma_f64 v[64:65], v[64:65], v[64:65], 1.0
	s_brev_b32 s5, 8
	v_cmp_gt_f64_e32 vcc, s[4:5], v[64:65]
	v_cndmask_b32_e64 v41, 0, 1, vcc
	v_lshlrev_b32_e32 v41, 8, v41
	v_ldexp_f64 v[64:65], v[64:65], v41
	v_rsq_f64_e32 v[66:67], v[64:65]
	v_mov_b32_e32 v41, 0xffffff80
	v_cndmask_b32_e32 v41, 0, v41, vcc
	v_mul_f64 v[68:69], v[64:65], v[66:67]
	v_mul_f64 v[66:67], v[66:67], 0.5
	v_fma_f64 v[70:71], -v[66:67], v[68:69], 0.5
	v_fmac_f64_e32 v[68:69], v[68:69], v[70:71]
	v_fma_f64 v[72:73], -v[68:69], v[68:69], v[64:65]
	v_fmac_f64_e32 v[66:67], v[66:67], v[70:71]
	v_fmac_f64_e32 v[68:69], v[72:73], v[66:67]
	v_fma_f64 v[70:71], -v[68:69], v[68:69], v[64:65]
	v_fmac_f64_e32 v[68:69], v[70:71], v[66:67]
	v_ldexp_f64 v[66:67], v[68:69], v41
	v_mov_b32_e32 v41, 0x260
	v_cmp_class_f64_e32 vcc, v[64:65], v41
	v_cndmask_b32_e32 v65, v67, v65, vcc
	v_cndmask_b32_e32 v64, v66, v64, vcc
	v_mul_f64 v[66:67], v[62:63], v[64:65]
.LBB11_22:
	s_or_b64 exec, exec, s[0:1]
	s_mov_b32 s0, 0
	s_brev_b32 s1, 8
	v_cmp_gt_f64_e32 vcc, s[0:1], v[66:67]
	v_cndmask_b32_e64 v41, 0, 1, vcc
	v_lshlrev_b32_e32 v41, 8, v41
	v_ldexp_f64 v[62:63], v[66:67], v41
	v_rsq_f64_e32 v[66:67], v[62:63]
	v_mov_b32_e32 v41, s3
	v_add_co_u32_e64 v58, s[0:1], s2, v58
	v_mul_f64 v[64:65], v[62:63], v[66:67]
	v_mul_f64 v[66:67], v[66:67], 0.5
	v_fma_f64 v[68:69], -v[66:67], v[64:65], 0.5
	v_fmac_f64_e32 v[64:65], v[64:65], v[68:69]
	v_fma_f64 v[70:71], -v[64:65], v[64:65], v[62:63]
	v_fmac_f64_e32 v[66:67], v[66:67], v[68:69]
	v_addc_co_u32_e64 v59, s[0:1], v41, v59, s[0:1]
	v_fmac_f64_e32 v[64:65], v[70:71], v[66:67]
	global_load_dwordx4 v[70:73], v[58:59], off
	v_add_co_u32_e64 v60, s[0:1], s2, v60
	v_addc_co_u32_e64 v61, s[0:1], v41, v61, s[0:1]
	global_load_dwordx4 v[74:77], v[60:61], off
	v_fma_f64 v[68:69], -v[64:65], v[64:65], v[62:63]
	v_fmac_f64_e32 v[64:65], v[68:69], v[66:67]
	v_mov_b32_e32 v66, 0xffffff80
	v_cndmask_b32_e32 v66, 0, v66, vcc
	v_ldexp_f64 v[64:65], v[64:65], v66
	v_mov_b32_e32 v66, 0x260
	v_cmp_class_f64_e32 vcc, v[62:63], v66
	v_cndmask_b32_e32 v65, v65, v63, vcc
	v_cndmask_b32_e32 v64, v64, v62, vcc
	v_fma_f64 v[62:63], v[64:65], v[64:65], 0
	v_div_scale_f64 v[66:67], s[0:1], v[62:63], v[62:63], 1.0
	v_rcp_f64_e32 v[68:69], v[66:67]
	s_mov_b32 s0, 0
	s_brev_b32 s1, 1
	s_sub_i32 s4, s7, s18
	v_fma_f64 v[78:79], -v[66:67], v[68:69], 1.0
	v_fmac_f64_e32 v[68:69], v[68:69], v[78:79]
	v_fma_f64 v[78:79], -v[66:67], v[68:69], 1.0
	v_fmac_f64_e32 v[68:69], v[68:69], v[78:79]
	v_div_scale_f64 v[78:79], vcc, 1.0, v[62:63], 1.0
	v_mul_f64 v[80:81], v[78:79], v[68:69]
	v_fma_f64 v[66:67], -v[66:67], v[80:81], v[78:79]
	s_nop 1
	v_div_fmas_f64 v[66:67], v[66:67], v[68:69], v[80:81]
	v_div_fixup_f64 v[78:79], v[66:67], v[62:63], 1.0
	v_mul_f64 v[62:63], v[36:37], s[0:1]
	v_fmac_f64_e32 v[62:63], v[34:35], v[64:65]
	v_mul_f64 v[66:67], v[62:63], v[78:79]
	v_mul_f64 v[62:63], v[34:35], s[0:1]
	v_fma_f64 v[62:63], -v[36:37], v[64:65], v[62:63]
	v_mul_f64 v[68:69], v[62:63], v[78:79]
	v_mul_f64 v[62:63], v[24:25], s[0:1]
	;; [unrolled: 1-line block ×3, first 2 shown]
	v_fmac_f64_e32 v[62:63], v[22:23], v[64:65]
	v_fma_f64 v[64:65], -v[24:25], v[64:65], v[80:81]
	v_mul_f64 v[64:65], v[64:65], v[78:79]
	v_mul_f64 v[62:63], v[62:63], v[78:79]
	v_mul_f64 v[78:79], v[64:65], -v[24:25]
	v_mul_f64 v[80:81], v[22:23], v[64:65]
	v_fmac_f64_e32 v[78:79], v[22:23], v[62:63]
	v_fmac_f64_e32 v[80:81], v[24:25], v[62:63]
	;; [unrolled: 1-line block ×4, first 2 shown]
	v_fma_f64 v[78:79], -v[36:37], v[68:69], v[78:79]
	v_fmac_f64_e32 v[80:81], v[34:35], v[68:69]
	s_waitcnt vmcnt(8)
	v_mul_f64 v[22:23], v[28:29], v[68:69]
	v_mul_f64 v[24:25], v[26:27], -v[68:69]
	v_mul_f64 v[34:35], v[64:65], -v[28:29]
	v_mul_f64 v[36:37], v[26:27], v[64:65]
	v_fmac_f64_e32 v[22:23], v[26:27], v[66:67]
	v_fmac_f64_e32 v[24:25], v[28:29], v[66:67]
	;; [unrolled: 1-line block ×4, first 2 shown]
	s_waitcnt vmcnt(6)
	v_mul_f64 v[26:27], v[16:17], v[68:69]
	v_mul_f64 v[28:29], v[14:15], -v[68:69]
	v_fmac_f64_e32 v[26:27], v[14:15], v[66:67]
	v_fmac_f64_e32 v[28:29], v[16:17], v[66:67]
	v_fma_f64 v[24:25], -v[32:33], v[62:63], v[24:25]
	v_fmac_f64_e32 v[34:35], v[30:31], v[66:67]
	v_fmac_f64_e32 v[36:37], v[32:33], v[66:67]
	s_waitcnt vmcnt(3)
	v_fma_f64 v[26:27], -v[18:19], v[62:63], v[26:27]
	v_fma_f64 v[28:29], -v[20:21], v[62:63], v[28:29]
	;; [unrolled: 1-line block ×3, first 2 shown]
	v_fmac_f64_e32 v[24:25], v[30:31], v[64:65]
	v_fma_f64 v[34:35], -v[32:33], v[68:69], v[34:35]
	v_fmac_f64_e32 v[36:37], v[30:31], v[68:69]
	v_fma_f64 v[26:27], v[20:21], -v[64:65], v[26:27]
	v_fmac_f64_e32 v[28:29], v[18:19], v[64:65]
	v_fma_f64 v[22:23], v[32:33], -v[64:65], v[22:23]
	global_store_dwordx4 v[52:53], v[34:37], off
	global_store_dwordx4 v[54:55], v[26:29], off
	v_mul_f64 v[30:31], v[24:25], v[24:25]
	s_waitcnt vmcnt(3)
	v_mul_f64 v[26:27], v[64:65], -v[72:73]
	v_mul_f64 v[28:29], v[64:65], v[70:71]
	v_fmac_f64_e32 v[26:27], v[70:71], v[62:63]
	v_fmac_f64_e32 v[28:29], v[72:73], v[62:63]
	;; [unrolled: 1-line block ×3, first 2 shown]
	s_waitcnt vmcnt(2)
	v_fmac_f64_e32 v[26:27], v[74:75], v[66:67]
	v_fmac_f64_e32 v[28:29], v[76:77], v[66:67]
	v_div_scale_f64 v[32:33], s[0:1], v[30:31], v[30:31], 1.0
	v_fma_f64 v[26:27], -v[76:77], v[68:69], v[26:27]
	v_fmac_f64_e32 v[28:29], v[74:75], v[68:69]
	v_rcp_f64_e32 v[34:35], v[32:33]
	global_store_dwordx4 v[60:61], v[26:29], off
	global_store_dwordx4 v[46:47], v[78:81], off
	v_mul_f64 v[26:27], v[68:69], v[72:73]
	v_fmac_f64_e32 v[26:27], v[70:71], v[66:67]
	v_fma_f64 v[26:27], -v[74:75], v[62:63], v[26:27]
	v_fma_f64 v[36:37], v[76:77], -v[64:65], v[26:27]
	v_fma_f64 v[26:27], -v[32:33], v[34:35], 1.0
	v_fmac_f64_e32 v[34:35], v[34:35], v[26:27]
	v_mul_f64 v[28:29], v[70:71], -v[68:69]
	v_fma_f64 v[26:27], -v[32:33], v[34:35], 1.0
	v_fmac_f64_e32 v[28:29], v[72:73], v[66:67]
	v_fmac_f64_e32 v[34:35], v[34:35], v[26:27]
	v_div_scale_f64 v[26:27], vcc, 1.0, v[30:31], 1.0
	v_fma_f64 v[54:55], -v[76:77], v[62:63], v[28:29]
	v_mul_f64 v[28:29], v[26:27], v[34:35]
	v_fma_f64 v[26:27], -v[32:33], v[28:29], v[26:27]
	global_store_dwordx4 v[56:57], v[22:25], off
	v_div_fmas_f64 v[26:27], v[26:27], v[34:35], v[28:29]
	v_div_fixup_f64 v[56:57], v[26:27], v[30:31], 1.0
	global_load_dwordx4 v[30:33], v[46:47], off
	v_fmac_f64_e32 v[54:55], v[74:75], v[64:65]
	global_load_dwordx4 v[26:29], v[52:53], off
	v_mul_f64 v[34:35], v[24:25], v[54:55]
	v_mul_f64 v[24:25], v[24:25], -v[36:37]
	v_fmac_f64_e32 v[34:35], v[36:37], v[22:23]
	v_fmac_f64_e32 v[24:25], v[54:55], v[22:23]
	v_mul_f64 v[34:35], v[56:57], v[34:35]
	v_mul_f64 v[36:37], v[56:57], v[24:25]
	global_store_dwordx4 v[58:59], v[34:37], off
	global_load_dwordx4 v[22:25], v[60:61], off
	v_mul_f64 v[54:55], v[14:15], v[64:65]
	v_mul_f64 v[46:47], v[64:65], -v[16:17]
	v_mul_f64 v[52:53], v[12:13], v[68:69]
	v_fmac_f64_e32 v[54:55], v[16:17], v[62:63]
	v_mul_f64 v[56:57], v[10:11], -v[68:69]
	v_fmac_f64_e32 v[46:47], v[14:15], v[62:63]
	v_fmac_f64_e32 v[52:53], v[10:11], v[66:67]
	;; [unrolled: 1-line block ×5, first 2 shown]
	v_fma_f64 v[14:15], -v[6:7], v[62:63], v[52:53]
	v_fmac_f64_e32 v[54:55], v[18:19], v[68:69]
	v_fma_f64 v[16:17], -v[8:9], v[62:63], v[56:57]
	v_fma_f64 v[52:53], -v[20:21], v[68:69], v[46:47]
	v_fma_f64 v[14:15], v[8:9], -v[64:65], v[14:15]
	v_fmac_f64_e32 v[16:17], v[6:7], v[64:65]
	global_store_dwordx4 v[48:49], v[52:55], off
	global_store_dwordx4 v[50:51], v[14:17], off
	v_mov_b32_e32 v56, s11
	v_mov_b32_e32 v57, s13
	;; [unrolled: 1-line block ×3, first 2 shown]
	v_mul_f64 v[48:49], v[10:11], v[64:65]
	v_fmac_f64_e32 v[48:49], v[12:13], v[62:63]
	v_fmac_f64_e32 v[48:49], v[8:9], v[66:67]
	;; [unrolled: 1-line block ×3, first 2 shown]
	v_mul_f64 v[50:51], v[4:5], v[68:69]
	v_mul_f64 v[52:53], v[2:3], -v[68:69]
	v_fmac_f64_e32 v[50:51], v[2:3], v[66:67]
	v_fmac_f64_e32 v[52:53], v[4:5], v[66:67]
	s_waitcnt vmcnt(5)
	v_mul_f64 v[18:19], v[32:33], v[32:33]
	v_fmac_f64_e32 v[18:19], v[30:31], v[30:31]
	s_waitcnt vmcnt(4)
	v_mul_f64 v[14:15], v[36:37], -v[28:29]
	v_div_scale_f64 v[20:21], s[0:1], v[18:19], v[18:19], 1.0
	v_mul_f64 v[16:17], v[26:27], v[36:37]
	v_fmac_f64_e32 v[14:15], v[26:27], v[34:35]
	v_rcp_f64_e32 v[26:27], v[20:21]
	v_fmac_f64_e32 v[16:17], v[28:29], v[34:35]
	s_waitcnt vmcnt(2)
	v_add_f64 v[22:23], v[22:23], -v[14:15]
	v_fma_f64 v[14:15], -v[20:21], v[26:27], 1.0
	v_fmac_f64_e32 v[26:27], v[26:27], v[14:15]
	v_fma_f64 v[14:15], -v[20:21], v[26:27], 1.0
	v_fmac_f64_e32 v[26:27], v[26:27], v[14:15]
	v_div_scale_f64 v[14:15], vcc, 1.0, v[18:19], 1.0
	v_add_f64 v[16:17], v[24:25], -v[16:17]
	v_mul_f64 v[24:25], v[14:15], v[26:27]
	v_fma_f64 v[14:15], -v[20:21], v[24:25], v[14:15]
	s_nop 0
	v_div_fmas_f64 v[14:15], v[14:15], v[26:27], v[24:25]
	v_div_fixup_f64 v[24:25], v[14:15], v[18:19], 1.0
	v_add_u32_e32 v18, s4, v1
	v_ashrrev_i32_e32 v19, 31, v18
	v_lshlrev_b64 v[26:27], 4, v[18:19]
	v_add_co_u32_e32 v18, vcc, s10, v26
	v_addc_co_u32_e32 v19, vcc, v56, v27, vcc
	global_load_dwordx4 v[18:21], v[18:19], off
	v_mul_f64 v[14:15], v[16:17], v[32:33]
	v_fmac_f64_e32 v[14:15], v[22:23], v[30:31]
	v_mul_f64 v[22:23], v[32:33], -v[22:23]
	v_add_co_u32_e32 v54, vcc, s2, v26
	v_fmac_f64_e32 v[22:23], v[16:17], v[30:31]
	v_addc_co_u32_e32 v55, vcc, v41, v27, vcc
	v_mul_f64 v[16:17], v[22:23], v[24:25]
	v_add_co_u32_e32 v22, vcc, s12, v26
	v_mul_f64 v[14:15], v[14:15], v[24:25]
	v_addc_co_u32_e32 v23, vcc, v57, v27, vcc
	global_store_dwordx4 v[60:61], v[14:17], off
	global_load_dwordx4 v[22:25], v[22:23], off
	v_add_co_u32_e32 v46, vcc, s14, v26
	v_addc_co_u32_e32 v47, vcc, v70, v27, vcc
	global_load_dwordx4 v[26:29], v[54:55], off
	global_load_dwordx4 v[30:33], v[46:47], off
	;; [unrolled: 1-line block ×3, first 2 shown]
	v_mul_f64 v[46:47], v[64:65], -v[12:13]
	v_fmac_f64_e32 v[46:47], v[10:11], v[62:63]
	v_fmac_f64_e32 v[46:47], v[6:7], v[66:67]
	v_fma_f64 v[46:47], -v[8:9], v[68:69], v[46:47]
	global_store_dwordx4 v[44:45], v[46:49], off
	global_store_dwordx4 v[42:43], v[50:53], off
	s_waitcnt vmcnt(7)
	v_mul_f64 v[6:7], v[20:21], v[20:21]
	v_fmac_f64_e32 v[6:7], v[18:19], v[18:19]
	v_div_scale_f64 v[8:9], s[0:1], v[6:7], v[6:7], 1.0
	v_rcp_f64_e32 v[10:11], v[8:9]
	v_div_scale_f64 v[12:13], vcc, 1.0, v[6:7], 1.0
	s_sub_i32 s0, s4, s18
	v_fma_f64 v[42:43], -v[8:9], v[10:11], 1.0
	v_fmac_f64_e32 v[10:11], v[10:11], v[42:43]
	v_fma_f64 v[42:43], -v[8:9], v[10:11], 1.0
	v_fmac_f64_e32 v[10:11], v[10:11], v[42:43]
	v_mul_f64 v[42:43], v[12:13], v[10:11]
	v_fma_f64 v[8:9], -v[8:9], v[42:43], v[12:13]
	v_div_fmas_f64 v[8:9], v[8:9], v[10:11], v[42:43]
	v_div_fixup_f64 v[8:9], v[8:9], v[6:7], 1.0
	s_waitcnt vmcnt(5)
	v_mul_f64 v[12:13], v[22:23], v[16:17]
	v_mul_f64 v[10:11], v[16:17], -v[24:25]
	v_fmac_f64_e32 v[12:13], v[24:25], v[14:15]
	v_fmac_f64_e32 v[10:11], v[22:23], v[14:15]
	s_waitcnt vmcnt(4)
	v_add_f64 v[12:13], v[28:29], -v[12:13]
	s_waitcnt vmcnt(2)
	v_mul_f64 v[16:17], v[36:37], v[30:31]
	v_mul_f64 v[14:15], v[36:37], -v[32:33]
	v_fmac_f64_e32 v[16:17], v[32:33], v[34:35]
	v_add_f64 v[10:11], v[26:27], -v[10:11]
	v_fmac_f64_e32 v[14:15], v[30:31], v[34:35]
	v_add_f64 v[12:13], v[12:13], -v[16:17]
	v_add_f64 v[10:11], v[10:11], -v[14:15]
	v_mul_f64 v[6:7], v[12:13], v[20:21]
	v_fmac_f64_e32 v[6:7], v[10:11], v[18:19]
	v_mul_f64 v[10:11], v[20:21], -v[10:11]
	v_fmac_f64_e32 v[10:11], v[12:13], v[18:19]
	v_mul_f64 v[6:7], v[6:7], v[8:9]
	v_mul_f64 v[8:9], v[8:9], v[10:11]
	v_add_u32_e32 v10, s0, v1
	v_ashrrev_i32_e32 v11, 31, v10
	v_lshlrev_b64 v[22:23], 4, v[10:11]
	v_add_co_u32_e32 v10, vcc, s10, v22
	v_addc_co_u32_e32 v11, vcc, v56, v23, vcc
	global_load_dwordx4 v[10:13], v[10:11], off
	v_add_co_u32_e32 v42, vcc, s2, v22
	v_addc_co_u32_e32 v43, vcc, v41, v23, vcc
	v_add_co_u32_e32 v24, vcc, s12, v22
	v_addc_co_u32_e32 v25, vcc, v57, v23, vcc
	v_mad_u64_u32 v[26:27], s[0:1], s17, -3, v[40:41]
	v_add_co_u32_e32 v22, vcc, s14, v22
	v_ashrrev_i32_e32 v27, 31, v26
	global_store_dwordx4 v[54:55], v[6:9], off
	v_addc_co_u32_e32 v23, vcc, v70, v23, vcc
	v_lshlrev_b64 v[26:27], 4, v[26:27]
	global_load_dwordx4 v[14:17], v[24:25], off
	global_load_dwordx4 v[18:21], v[42:43], off
	v_mov_b32_e32 v1, s21
	global_load_dwordx4 v[22:25], v[22:23], off
	v_add_co_u32_e32 v40, vcc, s20, v26
	v_addc_co_u32_e32 v41, vcc, v1, v27, vcc
	global_load_dwordx4 v[26:29], v[60:61], off
	global_load_dwordx4 v[30:33], v[40:41], off
	;; [unrolled: 1-line block ×3, first 2 shown]
	v_mov_b32_e32 v1, s23
	v_add_co_u32_e32 v44, vcc, s22, v38
	v_addc_co_u32_e32 v45, vcc, v1, v39, vcc
	v_mul_f64 v[38:39], v[64:65], -v[4:5]
	v_mul_f64 v[40:41], v[2:3], v[64:65]
	v_fmac_f64_e32 v[38:39], v[2:3], v[62:63]
	v_fmac_f64_e32 v[40:41], v[4:5], v[62:63]
	global_store_dwordx4 v[44:45], v[38:41], off
	s_cmp_lt_i32 s16, 5
	s_waitcnt vmcnt(8)
	v_mul_f64 v[2:3], v[12:13], v[12:13]
	v_fmac_f64_e32 v[2:3], v[10:11], v[10:11]
	v_div_scale_f64 v[4:5], s[0:1], v[2:3], v[2:3], 1.0
	v_rcp_f64_e32 v[46:47], v[4:5]
	v_div_scale_f64 v[38:39], vcc, 1.0, v[2:3], 1.0
	v_fma_f64 v[40:41], -v[4:5], v[46:47], 1.0
	v_fmac_f64_e32 v[46:47], v[46:47], v[40:41]
	v_fma_f64 v[40:41], -v[4:5], v[46:47], 1.0
	v_fmac_f64_e32 v[46:47], v[46:47], v[40:41]
	v_mul_f64 v[40:41], v[38:39], v[46:47]
	v_fma_f64 v[4:5], -v[4:5], v[40:41], v[38:39]
	v_div_fmas_f64 v[4:5], v[4:5], v[46:47], v[40:41]
	v_div_fixup_f64 v[4:5], v[4:5], v[2:3], 1.0
	s_waitcnt vmcnt(6)
	v_mul_f64 v[2:3], v[8:9], -v[16:17]
	v_mul_f64 v[8:9], v[14:15], v[8:9]
	v_fmac_f64_e32 v[2:3], v[14:15], v[6:7]
	v_fmac_f64_e32 v[8:9], v[16:17], v[6:7]
	s_waitcnt vmcnt(5)
	v_add_f64 v[2:3], v[18:19], -v[2:3]
	v_add_f64 v[6:7], v[20:21], -v[8:9]
	s_waitcnt vmcnt(3)
	v_mul_f64 v[14:15], v[28:29], v[22:23]
	v_mul_f64 v[8:9], v[28:29], -v[24:25]
	s_waitcnt vmcnt(1)
	v_mul_f64 v[18:19], v[36:37], v[30:31]
	v_fmac_f64_e32 v[14:15], v[24:25], v[26:27]
	v_mul_f64 v[16:17], v[36:37], -v[32:33]
	v_fmac_f64_e32 v[8:9], v[22:23], v[26:27]
	v_fmac_f64_e32 v[18:19], v[32:33], v[34:35]
	v_add_f64 v[6:7], v[6:7], -v[14:15]
	v_fmac_f64_e32 v[16:17], v[30:31], v[34:35]
	v_add_f64 v[2:3], v[2:3], -v[8:9]
	v_add_f64 v[6:7], v[6:7], -v[18:19]
	;; [unrolled: 1-line block ×3, first 2 shown]
	v_mul_f64 v[2:3], v[6:7], v[12:13]
	v_fmac_f64_e32 v[2:3], v[8:9], v[10:11]
	v_mul_f64 v[8:9], v[12:13], -v[8:9]
	v_fmac_f64_e32 v[8:9], v[6:7], v[10:11]
	v_mul_f64 v[2:3], v[2:3], v[4:5]
	v_mul_f64 v[4:5], v[4:5], v[8:9]
	global_store_dwordx4 v[42:43], v[2:5], off
	s_cbranch_scc1 .LBB11_25
; %bb.23:
	s_add_i32 s1, s16, -5
	s_add_i32 s0, s16, -4
	s_mul_i32 s4, s17, s1
	v_add_u32_e32 v1, s4, v0
	s_mul_i32 s4, s18, s0
	v_add_u32_e32 v2, s4, v0
	s_add_i32 s4, s16, -3
	s_mul_i32 s4, s18, s4
	v_add_u32_e32 v3, s4, v0
	s_mul_i32 s4, s18, s28
	s_mul_i32 s1, s18, s1
	v_add_u32_e32 v4, s4, v0
	v_add_u32_e32 v5, s6, v0
	;; [unrolled: 1-line block ×3, first 2 shown]
.LBB11_24:                              ; =>This Inner Loop Header: Depth=1
	v_add_u32_e32 v6, s19, v0
	v_ashrrev_i32_e32 v7, 31, v6
	v_lshlrev_b64 v[6:7], 4, v[6:7]
	v_mov_b32_e32 v18, s3
	v_add_co_u32_e32 v46, vcc, s2, v6
	v_add_u32_e32 v8, s19, v2
	v_addc_co_u32_e32 v47, vcc, v18, v7, vcc
	v_mov_b32_e32 v19, s13
	v_ashrrev_i32_e32 v9, 31, v8
	v_add_co_u32_e32 v48, vcc, s12, v6
	v_lshlrev_b64 v[8:9], 4, v[8:9]
	v_addc_co_u32_e32 v49, vcc, v19, v7, vcc
	v_add_co_u32_e32 v50, vcc, s2, v8
	v_add_u32_e32 v10, s19, v3
	v_addc_co_u32_e32 v51, vcc, v18, v9, vcc
	v_mov_b32_e32 v20, s15
	v_ashrrev_i32_e32 v11, 31, v10
	v_add_co_u32_e32 v52, vcc, s14, v6
	v_add_u32_e32 v12, s19, v1
	v_lshlrev_b64 v[10:11], 4, v[10:11]
	v_addc_co_u32_e32 v53, vcc, v20, v7, vcc
	v_ashrrev_i32_e32 v13, 31, v12
	v_add_co_u32_e32 v54, vcc, s2, v10
	v_add_u32_e32 v14, s19, v4
	v_lshlrev_b64 v[12:13], 4, v[12:13]
	v_addc_co_u32_e32 v55, vcc, v18, v11, vcc
	v_mov_b32_e32 v21, s21
	v_ashrrev_i32_e32 v15, 31, v14
	v_add_co_u32_e32 v56, vcc, s20, v12
	v_lshlrev_b64 v[14:15], 4, v[14:15]
	v_addc_co_u32_e32 v57, vcc, v21, v13, vcc
	v_add_co_u32_e32 v58, vcc, s2, v14
	v_add_u32_e32 v16, s19, v5
	v_addc_co_u32_e32 v59, vcc, v18, v15, vcc
	v_mov_b32_e32 v22, s23
	v_ashrrev_i32_e32 v17, 31, v16
	v_add_co_u32_e32 v60, vcc, s22, v12
	v_lshlrev_b64 v[16:17], 4, v[16:17]
	v_addc_co_u32_e32 v61, vcc, v22, v13, vcc
	v_add_co_u32_e32 v62, vcc, s2, v16
	v_addc_co_u32_e32 v63, vcc, v18, v17, vcc
	v_mov_b32_e32 v23, s11
	v_add_co_u32_e32 v64, vcc, s10, v6
	v_addc_co_u32_e32 v65, vcc, v23, v7, vcc
	global_load_dwordx4 v[6:9], v[50:51], off
	global_load_dwordx4 v[10:13], v[48:49], off
	;; [unrolled: 1-line block ×10, first 2 shown]
	s_add_i32 s0, s0, -1
	v_subrev_u32_e32 v1, s17, v1
	v_subrev_u32_e32 v2, s18, v2
	;; [unrolled: 1-line block ×6, first 2 shown]
	s_cmp_lg_u32 s0, 0
	s_waitcnt vmcnt(8)
	v_mul_f64 v[48:49], v[8:9], -v[12:13]
	v_mul_f64 v[8:9], v[8:9], v[10:11]
	v_fmac_f64_e32 v[48:49], v[10:11], v[6:7]
	s_waitcnt vmcnt(5)
	v_mul_f64 v[50:51], v[20:21], -v[24:25]
	v_mul_f64 v[20:21], v[20:21], v[22:23]
	v_fmac_f64_e32 v[8:9], v[12:13], v[6:7]
	v_add_f64 v[6:7], v[14:15], -v[48:49]
	s_waitcnt vmcnt(1)
	v_mul_f64 v[56:57], v[40:41], v[40:41]
	v_fmac_f64_e32 v[56:57], v[38:39], v[38:39]
	v_div_scale_f64 v[10:11], s[4:5], v[56:57], v[56:57], 1.0
	v_rcp_f64_e32 v[14:15], v[10:11]
	v_mul_f64 v[52:53], v[28:29], -v[32:33]
	v_mul_f64 v[28:29], v[28:29], v[30:31]
	v_fmac_f64_e32 v[20:21], v[24:25], v[18:19]
	v_add_f64 v[8:9], v[16:17], -v[8:9]
	s_waitcnt vmcnt(0)
	v_mul_f64 v[54:55], v[36:37], -v[44:45]
	v_mul_f64 v[36:37], v[36:37], v[42:43]
	v_fmac_f64_e32 v[50:51], v[22:23], v[18:19]
	v_fmac_f64_e32 v[28:29], v[32:33], v[26:27]
	v_add_f64 v[8:9], v[8:9], -v[20:21]
	v_fmac_f64_e32 v[52:53], v[30:31], v[26:27]
	v_fmac_f64_e32 v[36:37], v[44:45], v[34:35]
	v_add_f64 v[6:7], v[6:7], -v[50:51]
	v_add_f64 v[8:9], v[8:9], -v[28:29]
	v_fmac_f64_e32 v[54:55], v[42:43], v[34:35]
	v_add_f64 v[6:7], v[6:7], -v[52:53]
	v_add_f64 v[8:9], v[8:9], -v[36:37]
	v_fma_f64 v[20:21], -v[10:11], v[14:15], 1.0
	v_add_f64 v[6:7], v[6:7], -v[54:55]
	v_mul_f64 v[16:17], v[8:9], v[40:41]
	v_fmac_f64_e32 v[14:15], v[14:15], v[20:21]
	v_mul_f64 v[18:19], v[40:41], -v[6:7]
	v_fmac_f64_e32 v[16:17], v[6:7], v[38:39]
	v_fma_f64 v[6:7], -v[10:11], v[14:15], 1.0
	v_div_scale_f64 v[12:13], vcc, 1.0, v[56:57], 1.0
	v_fmac_f64_e32 v[14:15], v[14:15], v[6:7]
	v_mul_f64 v[6:7], v[12:13], v[14:15]
	v_fmac_f64_e32 v[18:19], v[8:9], v[38:39]
	v_fma_f64 v[8:9], -v[10:11], v[6:7], v[12:13]
	v_div_fmas_f64 v[6:7], v[8:9], v[14:15], v[6:7]
	v_div_fixup_f64 v[8:9], v[6:7], v[56:57], 1.0
	v_mul_f64 v[6:7], v[16:17], v[8:9]
	v_mul_f64 v[8:9], v[8:9], v[18:19]
	global_store_dwordx4 v[46:47], v[6:9], off
	s_cbranch_scc1 .LBB11_24
.LBB11_25:
	s_endpgm
	.section	.rodata,"a",@progbits
	.p2align	6, 0x0
	.amdhsa_kernel _ZN9rocsparseL39gpsv_interleaved_batch_givens_qr_kernelILj128E21rocsparse_complex_numIdEEEviiiPT0_S4_S4_S4_S4_S4_S4_S4_
		.amdhsa_group_segment_fixed_size 0
		.amdhsa_private_segment_fixed_size 0
		.amdhsa_kernarg_size 80
		.amdhsa_user_sgpr_count 6
		.amdhsa_user_sgpr_private_segment_buffer 1
		.amdhsa_user_sgpr_dispatch_ptr 0
		.amdhsa_user_sgpr_queue_ptr 0
		.amdhsa_user_sgpr_kernarg_segment_ptr 1
		.amdhsa_user_sgpr_dispatch_id 0
		.amdhsa_user_sgpr_flat_scratch_init 0
		.amdhsa_user_sgpr_kernarg_preload_length 0
		.amdhsa_user_sgpr_kernarg_preload_offset 0
		.amdhsa_user_sgpr_private_segment_size 0
		.amdhsa_uses_dynamic_stack 0
		.amdhsa_system_sgpr_private_segment_wavefront_offset 0
		.amdhsa_system_sgpr_workgroup_id_x 1
		.amdhsa_system_sgpr_workgroup_id_y 0
		.amdhsa_system_sgpr_workgroup_id_z 0
		.amdhsa_system_sgpr_workgroup_info 0
		.amdhsa_system_vgpr_workitem_id 0
		.amdhsa_next_free_vgpr 92
		.amdhsa_next_free_sgpr 32
		.amdhsa_accum_offset 92
		.amdhsa_reserve_vcc 1
		.amdhsa_reserve_flat_scratch 0
		.amdhsa_float_round_mode_32 0
		.amdhsa_float_round_mode_16_64 0
		.amdhsa_float_denorm_mode_32 3
		.amdhsa_float_denorm_mode_16_64 3
		.amdhsa_dx10_clamp 1
		.amdhsa_ieee_mode 1
		.amdhsa_fp16_overflow 0
		.amdhsa_tg_split 0
		.amdhsa_exception_fp_ieee_invalid_op 0
		.amdhsa_exception_fp_denorm_src 0
		.amdhsa_exception_fp_ieee_div_zero 0
		.amdhsa_exception_fp_ieee_overflow 0
		.amdhsa_exception_fp_ieee_underflow 0
		.amdhsa_exception_fp_ieee_inexact 0
		.amdhsa_exception_int_div_zero 0
	.end_amdhsa_kernel
	.section	.text._ZN9rocsparseL39gpsv_interleaved_batch_givens_qr_kernelILj128E21rocsparse_complex_numIdEEEviiiPT0_S4_S4_S4_S4_S4_S4_S4_,"axG",@progbits,_ZN9rocsparseL39gpsv_interleaved_batch_givens_qr_kernelILj128E21rocsparse_complex_numIdEEEviiiPT0_S4_S4_S4_S4_S4_S4_S4_,comdat
.Lfunc_end11:
	.size	_ZN9rocsparseL39gpsv_interleaved_batch_givens_qr_kernelILj128E21rocsparse_complex_numIdEEEviiiPT0_S4_S4_S4_S4_S4_S4_S4_, .Lfunc_end11-_ZN9rocsparseL39gpsv_interleaved_batch_givens_qr_kernelILj128E21rocsparse_complex_numIdEEEviiiPT0_S4_S4_S4_S4_S4_S4_S4_
                                        ; -- End function
	.section	.AMDGPU.csdata,"",@progbits
; Kernel info:
; codeLenInByte = 6936
; NumSgprs: 36
; NumVgprs: 92
; NumAgprs: 0
; TotalNumVgprs: 92
; ScratchSize: 0
; MemoryBound: 0
; FloatMode: 240
; IeeeMode: 1
; LDSByteSize: 0 bytes/workgroup (compile time only)
; SGPRBlocks: 4
; VGPRBlocks: 11
; NumSGPRsForWavesPerEU: 36
; NumVGPRsForWavesPerEU: 92
; AccumOffset: 92
; Occupancy: 5
; WaveLimiterHint : 0
; COMPUTE_PGM_RSRC2:SCRATCH_EN: 0
; COMPUTE_PGM_RSRC2:USER_SGPR: 6
; COMPUTE_PGM_RSRC2:TRAP_HANDLER: 0
; COMPUTE_PGM_RSRC2:TGID_X_EN: 1
; COMPUTE_PGM_RSRC2:TGID_Y_EN: 0
; COMPUTE_PGM_RSRC2:TGID_Z_EN: 0
; COMPUTE_PGM_RSRC2:TIDIG_COMP_CNT: 0
; COMPUTE_PGM_RSRC3_GFX90A:ACCUM_OFFSET: 22
; COMPUTE_PGM_RSRC3_GFX90A:TG_SPLIT: 0
	.text
	.p2alignl 6, 3212836864
	.fill 256, 4, 3212836864
	.type	__hip_cuid_91ff691c362d951c,@object ; @__hip_cuid_91ff691c362d951c
	.section	.bss,"aw",@nobits
	.globl	__hip_cuid_91ff691c362d951c
__hip_cuid_91ff691c362d951c:
	.byte	0                               ; 0x0
	.size	__hip_cuid_91ff691c362d951c, 1

	.ident	"AMD clang version 19.0.0git (https://github.com/RadeonOpenCompute/llvm-project roc-6.4.0 25133 c7fe45cf4b819c5991fe208aaa96edf142730f1d)"
	.section	".note.GNU-stack","",@progbits
	.addrsig
	.addrsig_sym __hip_cuid_91ff691c362d951c
	.amdgpu_metadata
---
amdhsa.kernels:
  - .agpr_count:     0
    .args:
      - .offset:         0
        .size:           4
        .value_kind:     by_value
      - .offset:         4
        .size:           4
        .value_kind:     by_value
      - .offset:         8
        .size:           4
        .value_kind:     by_value
      - .actual_access:  read_only
        .address_space:  global
        .offset:         16
        .size:           8
        .value_kind:     global_buffer
      - .actual_access:  write_only
        .address_space:  global
        .offset:         24
        .size:           8
        .value_kind:     global_buffer
      - .offset:         32
        .size:           4
        .value_kind:     hidden_block_count_x
      - .offset:         36
        .size:           4
        .value_kind:     hidden_block_count_y
      - .offset:         40
        .size:           4
        .value_kind:     hidden_block_count_z
      - .offset:         44
        .size:           2
        .value_kind:     hidden_group_size_x
      - .offset:         46
        .size:           2
        .value_kind:     hidden_group_size_y
      - .offset:         48
        .size:           2
        .value_kind:     hidden_group_size_z
      - .offset:         50
        .size:           2
        .value_kind:     hidden_remainder_x
      - .offset:         52
        .size:           2
        .value_kind:     hidden_remainder_y
      - .offset:         54
        .size:           2
        .value_kind:     hidden_remainder_z
      - .offset:         72
        .size:           8
        .value_kind:     hidden_global_offset_x
      - .offset:         80
        .size:           8
        .value_kind:     hidden_global_offset_y
      - .offset:         88
        .size:           8
        .value_kind:     hidden_global_offset_z
      - .offset:         96
        .size:           2
        .value_kind:     hidden_grid_dims
    .group_segment_fixed_size: 0
    .kernarg_segment_align: 8
    .kernarg_segment_size: 288
    .language:       OpenCL C
    .language_version:
      - 2
      - 0
    .max_flat_workgroup_size: 256
    .name:           _ZN9rocsparseL19gpsv_strided_gatherILj256EfEEviiiPKT0_PS1_
    .private_segment_fixed_size: 0
    .sgpr_count:     18
    .sgpr_spill_count: 0
    .symbol:         _ZN9rocsparseL19gpsv_strided_gatherILj256EfEEviiiPKT0_PS1_.kd
    .uniform_work_group_size: 1
    .uses_dynamic_stack: false
    .vgpr_count:     12
    .vgpr_spill_count: 0
    .wavefront_size: 64
  - .agpr_count:     0
    .args:
      - .offset:         0
        .size:           4
        .value_kind:     by_value
      - .offset:         4
        .size:           4
        .value_kind:     by_value
      - .offset:         8
        .size:           4
        .value_kind:     by_value
      - .address_space:  global
        .offset:         16
        .size:           8
        .value_kind:     global_buffer
      - .address_space:  global
        .offset:         24
        .size:           8
        .value_kind:     global_buffer
      - .address_space:  global
        .offset:         32
        .size:           8
        .value_kind:     global_buffer
      - .address_space:  global
        .offset:         40
        .size:           8
        .value_kind:     global_buffer
      - .address_space:  global
        .offset:         48
        .size:           8
        .value_kind:     global_buffer
      - .address_space:  global
        .offset:         56
        .size:           8
        .value_kind:     global_buffer
      - .address_space:  global
        .offset:         64
        .size:           8
        .value_kind:     global_buffer
      - .address_space:  global
        .offset:         72
        .size:           8
        .value_kind:     global_buffer
      - .address_space:  global
        .offset:         80
        .size:           8
        .value_kind:     global_buffer
      - .offset:         88
        .size:           4
        .value_kind:     hidden_block_count_x
      - .offset:         92
        .size:           4
        .value_kind:     hidden_block_count_y
      - .offset:         96
        .size:           4
        .value_kind:     hidden_block_count_z
      - .offset:         100
        .size:           2
        .value_kind:     hidden_group_size_x
      - .offset:         102
        .size:           2
        .value_kind:     hidden_group_size_y
      - .offset:         104
        .size:           2
        .value_kind:     hidden_group_size_z
      - .offset:         106
        .size:           2
        .value_kind:     hidden_remainder_x
      - .offset:         108
        .size:           2
        .value_kind:     hidden_remainder_y
      - .offset:         110
        .size:           2
        .value_kind:     hidden_remainder_z
      - .offset:         128
        .size:           8
        .value_kind:     hidden_global_offset_x
      - .offset:         136
        .size:           8
        .value_kind:     hidden_global_offset_y
      - .offset:         144
        .size:           8
        .value_kind:     hidden_global_offset_z
      - .offset:         152
        .size:           2
        .value_kind:     hidden_grid_dims
    .group_segment_fixed_size: 0
    .kernarg_segment_align: 8
    .kernarg_segment_size: 344
    .language:       OpenCL C
    .language_version:
      - 2
      - 0
    .max_flat_workgroup_size: 256
    .name:           _ZN9rocsparseL44gpsv_interleaved_batch_householder_qr_kernelILj256EfEEviiiPT0_S2_S2_S2_S2_S2_S2_S2_S2_
    .private_segment_fixed_size: 0
    .sgpr_count:     42
    .sgpr_spill_count: 0
    .symbol:         _ZN9rocsparseL44gpsv_interleaved_batch_householder_qr_kernelILj256EfEEviiiPT0_S2_S2_S2_S2_S2_S2_S2_S2_.kd
    .uniform_work_group_size: 1
    .uses_dynamic_stack: false
    .vgpr_count:     66
    .vgpr_spill_count: 0
    .wavefront_size: 64
  - .agpr_count:     0
    .args:
      - .offset:         0
        .size:           4
        .value_kind:     by_value
      - .offset:         4
        .size:           4
        .value_kind:     by_value
      - .offset:         8
        .size:           4
        .value_kind:     by_value
      - .actual_access:  read_only
        .address_space:  global
        .offset:         16
        .size:           8
        .value_kind:     global_buffer
      - .address_space:  global
        .offset:         24
        .size:           8
        .value_kind:     global_buffer
      - .address_space:  global
        .offset:         32
        .size:           8
        .value_kind:     global_buffer
      - .address_space:  global
        .offset:         40
        .size:           8
        .value_kind:     global_buffer
      - .address_space:  global
        .offset:         48
        .size:           8
        .value_kind:     global_buffer
      - .address_space:  global
        .offset:         56
        .size:           8
        .value_kind:     global_buffer
      - .address_space:  global
        .offset:         64
        .size:           8
        .value_kind:     global_buffer
      - .address_space:  global
        .offset:         72
        .size:           8
        .value_kind:     global_buffer
    .group_segment_fixed_size: 0
    .kernarg_segment_align: 8
    .kernarg_segment_size: 80
    .language:       OpenCL C
    .language_version:
      - 2
      - 0
    .max_flat_workgroup_size: 128
    .name:           _ZN9rocsparseL39gpsv_interleaved_batch_givens_qr_kernelILj128EfEEviiiPT0_S2_S2_S2_S2_S2_S2_S2_
    .private_segment_fixed_size: 0
    .sgpr_count:     29
    .sgpr_spill_count: 0
    .symbol:         _ZN9rocsparseL39gpsv_interleaved_batch_givens_qr_kernelILj128EfEEviiiPT0_S2_S2_S2_S2_S2_S2_S2_.kd
    .uniform_work_group_size: 1
    .uses_dynamic_stack: false
    .vgpr_count:     60
    .vgpr_spill_count: 0
    .wavefront_size: 64
  - .agpr_count:     0
    .args:
      - .offset:         0
        .size:           4
        .value_kind:     by_value
      - .offset:         4
        .size:           4
        .value_kind:     by_value
      - .offset:         8
        .size:           4
        .value_kind:     by_value
      - .actual_access:  read_only
        .address_space:  global
        .offset:         16
        .size:           8
        .value_kind:     global_buffer
      - .actual_access:  write_only
        .address_space:  global
        .offset:         24
        .size:           8
        .value_kind:     global_buffer
      - .offset:         32
        .size:           4
        .value_kind:     hidden_block_count_x
      - .offset:         36
        .size:           4
        .value_kind:     hidden_block_count_y
      - .offset:         40
        .size:           4
        .value_kind:     hidden_block_count_z
      - .offset:         44
        .size:           2
        .value_kind:     hidden_group_size_x
      - .offset:         46
        .size:           2
        .value_kind:     hidden_group_size_y
      - .offset:         48
        .size:           2
        .value_kind:     hidden_group_size_z
      - .offset:         50
        .size:           2
        .value_kind:     hidden_remainder_x
      - .offset:         52
        .size:           2
        .value_kind:     hidden_remainder_y
      - .offset:         54
        .size:           2
        .value_kind:     hidden_remainder_z
      - .offset:         72
        .size:           8
        .value_kind:     hidden_global_offset_x
      - .offset:         80
        .size:           8
        .value_kind:     hidden_global_offset_y
      - .offset:         88
        .size:           8
        .value_kind:     hidden_global_offset_z
      - .offset:         96
        .size:           2
        .value_kind:     hidden_grid_dims
    .group_segment_fixed_size: 0
    .kernarg_segment_align: 8
    .kernarg_segment_size: 288
    .language:       OpenCL C
    .language_version:
      - 2
      - 0
    .max_flat_workgroup_size: 256
    .name:           _ZN9rocsparseL19gpsv_strided_gatherILj256EdEEviiiPKT0_PS1_
    .private_segment_fixed_size: 0
    .sgpr_count:     14
    .sgpr_spill_count: 0
    .symbol:         _ZN9rocsparseL19gpsv_strided_gatherILj256EdEEviiiPKT0_PS1_.kd
    .uniform_work_group_size: 1
    .uses_dynamic_stack: false
    .vgpr_count:     10
    .vgpr_spill_count: 0
    .wavefront_size: 64
  - .agpr_count:     0
    .args:
      - .offset:         0
        .size:           4
        .value_kind:     by_value
      - .offset:         4
        .size:           4
        .value_kind:     by_value
      - .offset:         8
        .size:           4
        .value_kind:     by_value
      - .address_space:  global
        .offset:         16
        .size:           8
        .value_kind:     global_buffer
      - .address_space:  global
        .offset:         24
        .size:           8
        .value_kind:     global_buffer
      - .address_space:  global
        .offset:         32
        .size:           8
        .value_kind:     global_buffer
      - .address_space:  global
        .offset:         40
        .size:           8
        .value_kind:     global_buffer
      - .address_space:  global
        .offset:         48
        .size:           8
        .value_kind:     global_buffer
      - .address_space:  global
        .offset:         56
        .size:           8
        .value_kind:     global_buffer
      - .address_space:  global
        .offset:         64
        .size:           8
        .value_kind:     global_buffer
      - .address_space:  global
        .offset:         72
        .size:           8
        .value_kind:     global_buffer
      - .address_space:  global
        .offset:         80
        .size:           8
        .value_kind:     global_buffer
      - .offset:         88
        .size:           4
        .value_kind:     hidden_block_count_x
      - .offset:         92
        .size:           4
        .value_kind:     hidden_block_count_y
      - .offset:         96
        .size:           4
        .value_kind:     hidden_block_count_z
      - .offset:         100
        .size:           2
        .value_kind:     hidden_group_size_x
      - .offset:         102
        .size:           2
        .value_kind:     hidden_group_size_y
      - .offset:         104
        .size:           2
        .value_kind:     hidden_group_size_z
      - .offset:         106
        .size:           2
        .value_kind:     hidden_remainder_x
      - .offset:         108
        .size:           2
        .value_kind:     hidden_remainder_y
      - .offset:         110
        .size:           2
        .value_kind:     hidden_remainder_z
      - .offset:         128
        .size:           8
        .value_kind:     hidden_global_offset_x
      - .offset:         136
        .size:           8
        .value_kind:     hidden_global_offset_y
      - .offset:         144
        .size:           8
        .value_kind:     hidden_global_offset_z
      - .offset:         152
        .size:           2
        .value_kind:     hidden_grid_dims
    .group_segment_fixed_size: 0
    .kernarg_segment_align: 8
    .kernarg_segment_size: 344
    .language:       OpenCL C
    .language_version:
      - 2
      - 0
    .max_flat_workgroup_size: 256
    .name:           _ZN9rocsparseL44gpsv_interleaved_batch_householder_qr_kernelILj256EdEEviiiPT0_S2_S2_S2_S2_S2_S2_S2_S2_
    .private_segment_fixed_size: 0
    .sgpr_count:     40
    .sgpr_spill_count: 0
    .symbol:         _ZN9rocsparseL44gpsv_interleaved_batch_householder_qr_kernelILj256EdEEviiiPT0_S2_S2_S2_S2_S2_S2_S2_S2_.kd
    .uniform_work_group_size: 1
    .uses_dynamic_stack: false
    .vgpr_count:     80
    .vgpr_spill_count: 0
    .wavefront_size: 64
  - .agpr_count:     0
    .args:
      - .offset:         0
        .size:           4
        .value_kind:     by_value
      - .offset:         4
        .size:           4
        .value_kind:     by_value
      - .offset:         8
        .size:           4
        .value_kind:     by_value
      - .actual_access:  read_only
        .address_space:  global
        .offset:         16
        .size:           8
        .value_kind:     global_buffer
      - .address_space:  global
        .offset:         24
        .size:           8
        .value_kind:     global_buffer
      - .address_space:  global
        .offset:         32
        .size:           8
        .value_kind:     global_buffer
      - .address_space:  global
        .offset:         40
        .size:           8
        .value_kind:     global_buffer
      - .address_space:  global
        .offset:         48
        .size:           8
        .value_kind:     global_buffer
      - .address_space:  global
        .offset:         56
        .size:           8
        .value_kind:     global_buffer
      - .address_space:  global
        .offset:         64
        .size:           8
        .value_kind:     global_buffer
      - .address_space:  global
        .offset:         72
        .size:           8
        .value_kind:     global_buffer
    .group_segment_fixed_size: 0
    .kernarg_segment_align: 8
    .kernarg_segment_size: 80
    .language:       OpenCL C
    .language_version:
      - 2
      - 0
    .max_flat_workgroup_size: 128
    .name:           _ZN9rocsparseL39gpsv_interleaved_batch_givens_qr_kernelILj128EdEEviiiPT0_S2_S2_S2_S2_S2_S2_S2_
    .private_segment_fixed_size: 0
    .sgpr_count:     49
    .sgpr_spill_count: 0
    .symbol:         _ZN9rocsparseL39gpsv_interleaved_batch_givens_qr_kernelILj128EdEEviiiPT0_S2_S2_S2_S2_S2_S2_S2_.kd
    .uniform_work_group_size: 1
    .uses_dynamic_stack: false
    .vgpr_count:     64
    .vgpr_spill_count: 0
    .wavefront_size: 64
  - .agpr_count:     0
    .args:
      - .offset:         0
        .size:           4
        .value_kind:     by_value
      - .offset:         4
        .size:           4
        .value_kind:     by_value
      - .offset:         8
        .size:           4
        .value_kind:     by_value
      - .actual_access:  read_only
        .address_space:  global
        .offset:         16
        .size:           8
        .value_kind:     global_buffer
      - .actual_access:  write_only
        .address_space:  global
        .offset:         24
        .size:           8
        .value_kind:     global_buffer
      - .offset:         32
        .size:           4
        .value_kind:     hidden_block_count_x
      - .offset:         36
        .size:           4
        .value_kind:     hidden_block_count_y
      - .offset:         40
        .size:           4
        .value_kind:     hidden_block_count_z
      - .offset:         44
        .size:           2
        .value_kind:     hidden_group_size_x
      - .offset:         46
        .size:           2
        .value_kind:     hidden_group_size_y
      - .offset:         48
        .size:           2
        .value_kind:     hidden_group_size_z
      - .offset:         50
        .size:           2
        .value_kind:     hidden_remainder_x
      - .offset:         52
        .size:           2
        .value_kind:     hidden_remainder_y
      - .offset:         54
        .size:           2
        .value_kind:     hidden_remainder_z
      - .offset:         72
        .size:           8
        .value_kind:     hidden_global_offset_x
      - .offset:         80
        .size:           8
        .value_kind:     hidden_global_offset_y
      - .offset:         88
        .size:           8
        .value_kind:     hidden_global_offset_z
      - .offset:         96
        .size:           2
        .value_kind:     hidden_grid_dims
    .group_segment_fixed_size: 0
    .kernarg_segment_align: 8
    .kernarg_segment_size: 288
    .language:       OpenCL C
    .language_version:
      - 2
      - 0
    .max_flat_workgroup_size: 256
    .name:           _ZN9rocsparseL19gpsv_strided_gatherILj256E21rocsparse_complex_numIfEEEviiiPKT0_PS3_
    .private_segment_fixed_size: 0
    .sgpr_count:     14
    .sgpr_spill_count: 0
    .symbol:         _ZN9rocsparseL19gpsv_strided_gatherILj256E21rocsparse_complex_numIfEEEviiiPKT0_PS3_.kd
    .uniform_work_group_size: 1
    .uses_dynamic_stack: false
    .vgpr_count:     10
    .vgpr_spill_count: 0
    .wavefront_size: 64
  - .agpr_count:     0
    .args:
      - .offset:         0
        .size:           4
        .value_kind:     by_value
      - .offset:         4
        .size:           4
        .value_kind:     by_value
      - .offset:         8
        .size:           4
        .value_kind:     by_value
      - .address_space:  global
        .offset:         16
        .size:           8
        .value_kind:     global_buffer
      - .address_space:  global
        .offset:         24
        .size:           8
        .value_kind:     global_buffer
      - .address_space:  global
        .offset:         32
        .size:           8
        .value_kind:     global_buffer
      - .address_space:  global
        .offset:         40
        .size:           8
        .value_kind:     global_buffer
      - .address_space:  global
        .offset:         48
        .size:           8
        .value_kind:     global_buffer
      - .address_space:  global
        .offset:         56
        .size:           8
        .value_kind:     global_buffer
      - .address_space:  global
        .offset:         64
        .size:           8
        .value_kind:     global_buffer
      - .address_space:  global
        .offset:         72
        .size:           8
        .value_kind:     global_buffer
      - .address_space:  global
        .offset:         80
        .size:           8
        .value_kind:     global_buffer
      - .offset:         88
        .size:           4
        .value_kind:     hidden_block_count_x
      - .offset:         92
        .size:           4
        .value_kind:     hidden_block_count_y
      - .offset:         96
        .size:           4
        .value_kind:     hidden_block_count_z
      - .offset:         100
        .size:           2
        .value_kind:     hidden_group_size_x
      - .offset:         102
        .size:           2
        .value_kind:     hidden_group_size_y
      - .offset:         104
        .size:           2
        .value_kind:     hidden_group_size_z
      - .offset:         106
        .size:           2
        .value_kind:     hidden_remainder_x
      - .offset:         108
        .size:           2
        .value_kind:     hidden_remainder_y
      - .offset:         110
        .size:           2
        .value_kind:     hidden_remainder_z
      - .offset:         128
        .size:           8
        .value_kind:     hidden_global_offset_x
      - .offset:         136
        .size:           8
        .value_kind:     hidden_global_offset_y
      - .offset:         144
        .size:           8
        .value_kind:     hidden_global_offset_z
      - .offset:         152
        .size:           2
        .value_kind:     hidden_grid_dims
    .group_segment_fixed_size: 0
    .kernarg_segment_align: 8
    .kernarg_segment_size: 344
    .language:       OpenCL C
    .language_version:
      - 2
      - 0
    .max_flat_workgroup_size: 256
    .name:           _ZN9rocsparseL44gpsv_interleaved_batch_householder_qr_kernelILj256E21rocsparse_complex_numIfEEEviiiPT0_S4_S4_S4_S4_S4_S4_S4_S4_
    .private_segment_fixed_size: 0
    .sgpr_count:     42
    .sgpr_spill_count: 0
    .symbol:         _ZN9rocsparseL44gpsv_interleaved_batch_householder_qr_kernelILj256E21rocsparse_complex_numIfEEEviiiPT0_S4_S4_S4_S4_S4_S4_S4_S4_.kd
    .uniform_work_group_size: 1
    .uses_dynamic_stack: false
    .vgpr_count:     90
    .vgpr_spill_count: 0
    .wavefront_size: 64
  - .agpr_count:     0
    .args:
      - .offset:         0
        .size:           4
        .value_kind:     by_value
      - .offset:         4
        .size:           4
        .value_kind:     by_value
      - .offset:         8
        .size:           4
        .value_kind:     by_value
      - .actual_access:  read_only
        .address_space:  global
        .offset:         16
        .size:           8
        .value_kind:     global_buffer
      - .address_space:  global
        .offset:         24
        .size:           8
        .value_kind:     global_buffer
      - .address_space:  global
        .offset:         32
        .size:           8
        .value_kind:     global_buffer
      - .address_space:  global
        .offset:         40
        .size:           8
        .value_kind:     global_buffer
      - .address_space:  global
        .offset:         48
        .size:           8
        .value_kind:     global_buffer
      - .address_space:  global
        .offset:         56
        .size:           8
        .value_kind:     global_buffer
      - .address_space:  global
        .offset:         64
        .size:           8
        .value_kind:     global_buffer
      - .address_space:  global
        .offset:         72
        .size:           8
        .value_kind:     global_buffer
    .group_segment_fixed_size: 0
    .kernarg_segment_align: 8
    .kernarg_segment_size: 80
    .language:       OpenCL C
    .language_version:
      - 2
      - 0
    .max_flat_workgroup_size: 128
    .name:           _ZN9rocsparseL39gpsv_interleaved_batch_givens_qr_kernelILj128E21rocsparse_complex_numIfEEEviiiPT0_S4_S4_S4_S4_S4_S4_S4_
    .private_segment_fixed_size: 0
    .sgpr_count:     33
    .sgpr_spill_count: 0
    .symbol:         _ZN9rocsparseL39gpsv_interleaved_batch_givens_qr_kernelILj128E21rocsparse_complex_numIfEEEviiiPT0_S4_S4_S4_S4_S4_S4_S4_.kd
    .uniform_work_group_size: 1
    .uses_dynamic_stack: false
    .vgpr_count:     66
    .vgpr_spill_count: 0
    .wavefront_size: 64
  - .agpr_count:     0
    .args:
      - .offset:         0
        .size:           4
        .value_kind:     by_value
      - .offset:         4
        .size:           4
        .value_kind:     by_value
      - .offset:         8
        .size:           4
        .value_kind:     by_value
      - .actual_access:  read_only
        .address_space:  global
        .offset:         16
        .size:           8
        .value_kind:     global_buffer
      - .actual_access:  write_only
        .address_space:  global
        .offset:         24
        .size:           8
        .value_kind:     global_buffer
      - .offset:         32
        .size:           4
        .value_kind:     hidden_block_count_x
      - .offset:         36
        .size:           4
        .value_kind:     hidden_block_count_y
      - .offset:         40
        .size:           4
        .value_kind:     hidden_block_count_z
      - .offset:         44
        .size:           2
        .value_kind:     hidden_group_size_x
      - .offset:         46
        .size:           2
        .value_kind:     hidden_group_size_y
      - .offset:         48
        .size:           2
        .value_kind:     hidden_group_size_z
      - .offset:         50
        .size:           2
        .value_kind:     hidden_remainder_x
      - .offset:         52
        .size:           2
        .value_kind:     hidden_remainder_y
      - .offset:         54
        .size:           2
        .value_kind:     hidden_remainder_z
      - .offset:         72
        .size:           8
        .value_kind:     hidden_global_offset_x
      - .offset:         80
        .size:           8
        .value_kind:     hidden_global_offset_y
      - .offset:         88
        .size:           8
        .value_kind:     hidden_global_offset_z
      - .offset:         96
        .size:           2
        .value_kind:     hidden_grid_dims
    .group_segment_fixed_size: 0
    .kernarg_segment_align: 8
    .kernarg_segment_size: 288
    .language:       OpenCL C
    .language_version:
      - 2
      - 0
    .max_flat_workgroup_size: 256
    .name:           _ZN9rocsparseL19gpsv_strided_gatherILj256E21rocsparse_complex_numIdEEEviiiPKT0_PS3_
    .private_segment_fixed_size: 0
    .sgpr_count:     14
    .sgpr_spill_count: 0
    .symbol:         _ZN9rocsparseL19gpsv_strided_gatherILj256E21rocsparse_complex_numIdEEEviiiPKT0_PS3_.kd
    .uniform_work_group_size: 1
    .uses_dynamic_stack: false
    .vgpr_count:     12
    .vgpr_spill_count: 0
    .wavefront_size: 64
  - .agpr_count:     0
    .args:
      - .offset:         0
        .size:           4
        .value_kind:     by_value
      - .offset:         4
        .size:           4
        .value_kind:     by_value
      - .offset:         8
        .size:           4
        .value_kind:     by_value
      - .address_space:  global
        .offset:         16
        .size:           8
        .value_kind:     global_buffer
      - .address_space:  global
        .offset:         24
        .size:           8
        .value_kind:     global_buffer
      - .address_space:  global
        .offset:         32
        .size:           8
        .value_kind:     global_buffer
      - .address_space:  global
        .offset:         40
        .size:           8
        .value_kind:     global_buffer
      - .address_space:  global
        .offset:         48
        .size:           8
        .value_kind:     global_buffer
      - .address_space:  global
        .offset:         56
        .size:           8
        .value_kind:     global_buffer
      - .address_space:  global
        .offset:         64
        .size:           8
        .value_kind:     global_buffer
      - .address_space:  global
        .offset:         72
        .size:           8
        .value_kind:     global_buffer
      - .address_space:  global
        .offset:         80
        .size:           8
        .value_kind:     global_buffer
      - .offset:         88
        .size:           4
        .value_kind:     hidden_block_count_x
      - .offset:         92
        .size:           4
        .value_kind:     hidden_block_count_y
      - .offset:         96
        .size:           4
        .value_kind:     hidden_block_count_z
      - .offset:         100
        .size:           2
        .value_kind:     hidden_group_size_x
      - .offset:         102
        .size:           2
        .value_kind:     hidden_group_size_y
      - .offset:         104
        .size:           2
        .value_kind:     hidden_group_size_z
      - .offset:         106
        .size:           2
        .value_kind:     hidden_remainder_x
      - .offset:         108
        .size:           2
        .value_kind:     hidden_remainder_y
      - .offset:         110
        .size:           2
        .value_kind:     hidden_remainder_z
      - .offset:         128
        .size:           8
        .value_kind:     hidden_global_offset_x
      - .offset:         136
        .size:           8
        .value_kind:     hidden_global_offset_y
      - .offset:         144
        .size:           8
        .value_kind:     hidden_global_offset_z
      - .offset:         152
        .size:           2
        .value_kind:     hidden_grid_dims
    .group_segment_fixed_size: 0
    .kernarg_segment_align: 8
    .kernarg_segment_size: 344
    .language:       OpenCL C
    .language_version:
      - 2
      - 0
    .max_flat_workgroup_size: 256
    .name:           _ZN9rocsparseL44gpsv_interleaved_batch_householder_qr_kernelILj256E21rocsparse_complex_numIdEEEviiiPT0_S4_S4_S4_S4_S4_S4_S4_S4_
    .private_segment_fixed_size: 0
    .sgpr_count:     46
    .sgpr_spill_count: 0
    .symbol:         _ZN9rocsparseL44gpsv_interleaved_batch_householder_qr_kernelILj256E21rocsparse_complex_numIdEEEviiiPT0_S4_S4_S4_S4_S4_S4_S4_S4_.kd
    .uniform_work_group_size: 1
    .uses_dynamic_stack: false
    .vgpr_count:     142
    .vgpr_spill_count: 0
    .wavefront_size: 64
  - .agpr_count:     0
    .args:
      - .offset:         0
        .size:           4
        .value_kind:     by_value
      - .offset:         4
        .size:           4
        .value_kind:     by_value
      - .offset:         8
        .size:           4
        .value_kind:     by_value
      - .actual_access:  read_only
        .address_space:  global
        .offset:         16
        .size:           8
        .value_kind:     global_buffer
      - .address_space:  global
        .offset:         24
        .size:           8
        .value_kind:     global_buffer
      - .address_space:  global
        .offset:         32
        .size:           8
        .value_kind:     global_buffer
      - .address_space:  global
        .offset:         40
        .size:           8
        .value_kind:     global_buffer
      - .address_space:  global
        .offset:         48
        .size:           8
        .value_kind:     global_buffer
      - .address_space:  global
        .offset:         56
        .size:           8
        .value_kind:     global_buffer
      - .address_space:  global
        .offset:         64
        .size:           8
        .value_kind:     global_buffer
      - .address_space:  global
        .offset:         72
        .size:           8
        .value_kind:     global_buffer
    .group_segment_fixed_size: 0
    .kernarg_segment_align: 8
    .kernarg_segment_size: 80
    .language:       OpenCL C
    .language_version:
      - 2
      - 0
    .max_flat_workgroup_size: 128
    .name:           _ZN9rocsparseL39gpsv_interleaved_batch_givens_qr_kernelILj128E21rocsparse_complex_numIdEEEviiiPT0_S4_S4_S4_S4_S4_S4_S4_
    .private_segment_fixed_size: 0
    .sgpr_count:     36
    .sgpr_spill_count: 0
    .symbol:         _ZN9rocsparseL39gpsv_interleaved_batch_givens_qr_kernelILj128E21rocsparse_complex_numIdEEEviiiPT0_S4_S4_S4_S4_S4_S4_S4_.kd
    .uniform_work_group_size: 1
    .uses_dynamic_stack: false
    .vgpr_count:     92
    .vgpr_spill_count: 0
    .wavefront_size: 64
amdhsa.target:   amdgcn-amd-amdhsa--gfx90a
amdhsa.version:
  - 1
  - 2
...

	.end_amdgpu_metadata
